;; amdgpu-corpus repo=ROCm/aiter kind=harvested arch=n/a opt=n/a

/root/src/amdgpu-assembly/repos/ROCm__aiter/hsa/gfx950/fmoe/silu/fmoe_fp16_pertokenFp8_g1u1_vs_silu_1tg_32x192.co:	file format elf64-amdgpu

Disassembly of section .text:

0000000000002e00 <_ZN5aiter45fmoe_fp16_pertokenFp8_g1u1_vs_silu_1tg_32x192E>:
	s_and_b32 s1, s1, 0xffff                                   // 000000002E00: 8601FF01 0000FFFF
	s_load_dwordx2 s[8:9], s[0:1], 0x0                         // 000000002E08: C0060200 00000000
	s_load_dwordx2 s[20:21], s[0:1], 0x10                      // 000000002E10: C0060500 00000010
	s_load_dwordx2 s[24:25], s[0:1], 0x20                      // 000000002E18: C0060600 00000020
	s_load_dwordx2 s[50:51], s[0:1], 0x30                      // 000000002E20: C0060C80 00000030
	s_load_dwordx2 s[12:13], s[0:1], 0x40                      // 000000002E28: C0060300 00000040
	s_load_dwordx2 s[28:29], s[0:1], 0x50                      // 000000002E30: C0060700 00000050
	s_load_dwordx2 s[32:33], s[0:1], 0x60                      // 000000002E38: C0060800 00000060
	s_load_dwordx2 s[16:17], s[0:1], 0x70                      // 000000002E40: C0060400 00000070
	s_load_dwordx2 s[36:37], s[0:1], 0x80                      // 000000002E48: C0060900 00000080
	s_load_dwordx2 s[44:45], s[0:1], 0x90                      // 000000002E50: C0060B00 00000090
	s_load_dwordx2 s[40:41], s[0:1], 0xa0                      // 000000002E58: C0060A00 000000A0
	s_load_dwordx2 s[46:47], s[0:1], 0xb0                      // 000000002E60: C0060B80 000000B0
	s_load_dword s64, s[0:1], 0xc0                             // 000000002E68: C0021000 000000C0
	s_load_dword s65, s[0:1], 0xd0                             // 000000002E70: C0021040 000000D0
	s_load_dword s66, s[0:1], 0xe0                             // 000000002E78: C0021080 000000E0
	s_load_dword s67, s[0:1], 0xf0                             // 000000002E80: C00210C0 000000F0
	s_load_dword s68, s[0:1], 0x100                            // 000000002E88: C0021100 00000100
	s_load_dword s69, s[0:1], 0x110                            // 000000002E90: C0021140 00000110
	s_load_dword s70, s[0:1], 0x120                            // 000000002E98: C0021180 00000120
	s_load_dword s71, s[0:1], 0x130                            // 000000002EA0: C00211C0 00000130
	s_load_dword s72, s[0:1], 0x140                            // 000000002EA8: C0021200 00000140
	s_load_dword s73, s[0:1], 0x150                            // 000000002EB0: C0021240 00000150
	s_load_dword s74, s[0:1], 0x160                            // 000000002EB8: C0021280 00000160
	s_load_dword s75, s[0:1], 0x170                            // 000000002EC0: C00212C0 00000170
	s_load_dword s76, s[0:1], 0x180                            // 000000002EC8: C0021300 00000180
	v_lshrrev_b32_e32 v1, 10, v0                               // 000000002ED0: 2002008A
	v_lshrrev_b32_e32 v2, 10, v1                               // 000000002ED4: 2004028A
	v_and_b32_e32 v2, 0x3ff, v2                                // 000000002ED8: 260404FF 000003FF
	v_and_b32_e32 v1, 0x3ff, v1                                // 000000002EE0: 260202FF 000003FF
	v_and_b32_e32 v0, 0x3ff, v0                                // 000000002EE8: 260000FF 000003FF
	v_lshrrev_b32_e32 v3, 6, v0                                // 000000002EF0: 20060086
	v_and_b32_e32 v0, 63, v0                                   // 000000002EF4: 260000BF
	s_mov_b32 s2, s2                                           // 000000002EF8: BE820002
	s_mov_b32 s3, s3                                           // 000000002EFC: BE830003
	s_mov_b32 s4, s4                                           // 000000002F00: BE840004
	v_readfirstlane_b32 s7, v3                                 // 000000002F04: 7E0E0503
	s_waitcnt lgkmcnt(0)                                       // 000000002F08: BF8CC07F
	s_and_b32 s51, s51, 0xffff                                 // 000000002F0C: 8633FF33 0000FFFF
	s_load_dword s50, s[50:51], 0x0                            // 000000002F14: C0020C99 00000000
	s_and_b32 s45, s45, 0xffff                                 // 000000002F1C: 862DFF2D 0000FFFF
	s_and_b32 s47, s47, 0xffff                                 // 000000002F24: 862FFF2F 0000FFFF
	s_and_b32 s9, s9, 0xffff                                   // 000000002F2C: 8609FF09 0000FFFF
	s_mul_i32 s60, s66, s68                                    // 000000002F34: 923C4442
	s_mul_i32 s61, s66, 4                                      // 000000002F38: 923D8442
	s_mov_b32 s22, s60                                         // 000000002F3C: BE96003C
	s_mov_b32 s26, -16                                         // 000000002F40: BE9A00D0
	s_mov_b32 s14, -16                                         // 000000002F44: BE8E00D0
	s_mov_b32 s42, -16                                         // 000000002F48: BEAA00D0
	s_mov_b32 s30, s61                                         // 000000002F4C: BE9E003D
	s_mov_b32 s34, 0x300                                       // 000000002F50: BEA200FF 00000300
	s_mov_b32 s38, 0x300                                       // 000000002F58: BEA600FF 00000300
	s_mov_b32 s18, -16                                         // 000000002F60: BE9200D0
	s_mov_b32 s23, 0x20000                                     // 000000002F64: BE9700FF 00020000
	s_mov_b32 s27, 0x20000                                     // 000000002F6C: BE9B00FF 00020000
	s_mov_b32 s15, 0x20000                                     // 000000002F74: BE8F00FF 00020000
	s_mov_b32 s43, 0x20000                                     // 000000002F7C: BEAB00FF 00020000
	s_mov_b32 s31, 0x20000                                     // 000000002F84: BE9F00FF 00020000
	s_mov_b32 s35, 0x20000                                     // 000000002F8C: BEA300FF 00020000
	s_mov_b32 s39, 0x20000                                     // 000000002F94: BEA700FF 00020000
	s_mov_b32 s19, 0x20000                                     // 000000002F9C: BE9300FF 00020000
	s_and_b32 s21, s21, 0xffff                                 // 000000002FA4: 8615FF15 0000FFFF
	s_and_b32 s25, s25, 0xffff                                 // 000000002FAC: 8619FF19 0000FFFF
	s_and_b32 s13, s13, 0xffff                                 // 000000002FB4: 860DFF0D 0000FFFF
	s_and_b32 s41, s41, 0xffff                                 // 000000002FBC: 8629FF29 0000FFFF
	s_and_b32 s29, s29, 0xffff                                 // 000000002FC4: 861DFF1D 0000FFFF
	s_and_b32 s33, s33, 0xffff                                 // 000000002FCC: 8621FF21 0000FFFF
	s_and_b32 s37, s37, 0xffff                                 // 000000002FD4: 8625FF25 0000FFFF
	s_and_b32 s17, s17, 0xffff                                 // 000000002FDC: 8611FF11 0000FFFF
	s_or_b32 s21, s21, 0x40000                                 // 000000002FE4: 8715FF15 00040000
	s_or_b32 s25, s25, 0x40000                                 // 000000002FEC: 8719FF19 00040000
	s_or_b32 s13, s13, 0x40000                                 // 000000002FF4: 870DFF0D 00040000
	s_or_b32 s41, s41, 0x40000                                 // 000000002FFC: 8729FF29 00040000
	s_or_b32 s29, s29, 0x40000                                 // 000000003004: 871DFF1D 00040000
	s_or_b32 s33, s33, 0x40000                                 // 00000000300C: 8721FF21 00040000
	s_or_b32 s37, s37, 0x40000                                 // 000000003014: 8725FF25 00040000
	s_or_b32 s17, s17, 0x40000                                 // 00000000301C: 8711FF11 00040000
	v_accvgpr_write_b32 a95, 0                                 // 000000003024: D3D9405F 18000080
	v_mov_b32_e32 v215, 0                                      // 00000000302C: 7FAE0280
	s_waitcnt lgkmcnt(0)                                       // 000000003030: BF8CC07F
	s_mul_i32 s60, s3, 32                                      // 000000003034: 923CA003
	s_cmp_lt_i32 s60, s50                                      // 000000003038: BF04323C
	s_cbranch_scc0 label_1461                                  // 00000000303C: BF8413D1
	s_mov_b32 s80, 0                                           // 000000003040: BED00080
	s_mov_b32 s81, s64                                         // 000000003044: BED10040
	s_mul_i32 s60, s3, 4                                       // 000000003048: 923C8403
	s_add_u32 s46, s60, s46                                    // 00000000304C: 802E2E3C
	s_addc_u32 s47, 0, s47                                     // 000000003050: 822F2F80
	s_load_dword s5, s[46:47], 0x0                             // 000000003054: C0020157 00000000
	s_mul_i32 s60, s3, 32                                      // 00000000305C: 923CA003
	s_mul_i32 s60, 4, s60                                      // 000000003060: 923C3C84
	v_and_b32_e32 v44, 15, v0                                  // 000000003064: 2658008F
	v_lshlrev_b32_e32 v44, 2, v44                              // 000000003068: 24585882
	v_add_u32_e32 v44, s60, v44                                // 00000000306C: 6858583C
	v_mov_b32_e32 v45, 0                                       // 000000003070: 7E5A0280
	global_load_dword v6, v44, s[44:45]                        // 000000003074: DC508000 062C002C
	v_add_u32_e32 v44, 64, v44                                 // 00000000307C: 685858C0
	global_load_dword v7, v44, s[44:45]                        // 000000003080: DC508000 072C002C
	s_mul_i32 s60, s3, 32                                      // 000000003088: 923CA003
	s_add_u32 s60, s7, s60                                     // 00000000308C: 803C3C07
	s_mul_i32 s60, 4, s60                                      // 000000003090: 923C3C84
	s_add_u32 s44, s60, s44                                    // 000000003094: 802C2C3C
	s_addc_u32 s45, 0, s45                                     // 000000003098: 822D2D80
	s_load_dword s82, s[44:45], 0x0                            // 00000000309C: C0021496 00000000
	s_load_dword s83, s[44:45], 0x10                           // 0000000030A4: C00214D6 00000010
	s_load_dword s84, s[44:45], 0x20                           // 0000000030AC: C0021516 00000020
	s_load_dword s85, s[44:45], 0x30                           // 0000000030B4: C0021556 00000030
	s_load_dword s86, s[44:45], 0x40                           // 0000000030BC: C0021596 00000040
	s_load_dword s87, s[44:45], 0x50                           // 0000000030C4: C00215D6 00000050
	s_load_dword s88, s[44:45], 0x60                           // 0000000030CC: C0021616 00000060
	s_load_dword s89, s[44:45], 0x70                           // 0000000030D4: C0021656 00000070
	s_waitcnt lgkmcnt(0)                                       // 0000000030DC: BF8CC07F
	v_lshlrev_b32_e32 v44, 2, v0                               // 0000000030E0: 24580082
	s_and_b32 s82, s82, 0xffffff                               // 0000000030E4: 8652FF52 00FFFFFF
	s_mul_i32 s60, s82, s68                                    // 0000000030EC: 923C4452
	v_add_u32_e64 v24, v44, s60                                // 0000000030F0: D1340018 0000792C
	s_and_b32 s83, s83, 0xffffff                               // 0000000030F8: 8653FF53 00FFFFFF
	s_mul_i32 s60, s83, s68                                    // 000000003100: 923C4453
	v_add_u32_e64 v25, v44, s60                                // 000000003104: D1340019 0000792C
	s_and_b32 s84, s84, 0xffffff                               // 00000000310C: 8654FF54 00FFFFFF
	s_mul_i32 s60, s84, s68                                    // 000000003114: 923C4454
	v_add_u32_e64 v26, v44, s60                                // 000000003118: D134001A 0000792C
	s_and_b32 s85, s85, 0xffffff                               // 000000003120: 8655FF55 00FFFFFF
	s_mul_i32 s60, s85, s68                                    // 000000003128: 923C4455
	v_add_u32_e64 v27, v44, s60                                // 00000000312C: D134001B 0000792C
	s_and_b32 s86, s86, 0xffffff                               // 000000003134: 8656FF56 00FFFFFF
	s_mul_i32 s60, s86, s68                                    // 00000000313C: 923C4456
	v_add_u32_e64 v28, v44, s60                                // 000000003140: D134001C 0000792C
	s_and_b32 s87, s87, 0xffffff                               // 000000003148: 8657FF57 00FFFFFF
	s_mul_i32 s60, s87, s68                                    // 000000003150: 923C4457
	v_add_u32_e64 v29, v44, s60                                // 000000003154: D134001D 0000792C
	s_and_b32 s88, s88, 0xffffff                               // 00000000315C: 8658FF58 00FFFFFF
	s_mul_i32 s60, s88, s68                                    // 000000003164: 923C4458
	v_add_u32_e64 v30, v44, s60                                // 000000003168: D134001E 0000792C
	s_and_b32 s89, s89, 0xffffff                               // 000000003170: 8659FF59 00FFFFFF
	s_mul_i32 s60, s89, s68                                    // 000000003178: 923C4459
	v_add_u32_e64 v31, v44, s60                                // 00000000317C: D134001F 0000792C
	v_lshlrev_b32_e32 v44, 2, v0                               // 000000003184: 24580082
	s_mul_i32 s60, s82, s71                                    // 000000003188: 923C4752
	v_add_u32_e64 v80, v44, s60                                // 00000000318C: D1340050 0000792C
	v_mov_b32_e32 v81, 0                                       // 000000003194: 7EA20280
	s_mul_i32 s60, s83, s71                                    // 000000003198: 923C4753
	v_add_u32_e64 v82, v44, s60                                // 00000000319C: D1340052 0000792C
	v_mov_b32_e32 v83, 0                                       // 0000000031A4: 7EA60280
	s_mul_i32 s60, s84, s71                                    // 0000000031A8: 923C4754
	v_add_u32_e64 v84, v44, s60                                // 0000000031AC: D1340054 0000792C
	v_mov_b32_e32 v85, 0                                       // 0000000031B4: 7EAA0280
	s_mul_i32 s60, s85, s71                                    // 0000000031B8: 923C4755
	v_add_u32_e64 v86, v44, s60                                // 0000000031BC: D1340056 0000792C
	v_mov_b32_e32 v87, 0                                       // 0000000031C4: 7EAE0280
	s_mul_i32 s60, s86, s71                                    // 0000000031C8: 923C4756
	v_add_u32_e64 v88, v44, s60                                // 0000000031CC: D1340058 0000792C
	v_mov_b32_e32 v89, 0                                       // 0000000031D4: 7EB20280
	s_mul_i32 s60, s87, s71                                    // 0000000031D8: 923C4757
	v_add_u32_e64 v90, v44, s60                                // 0000000031DC: D134005A 0000792C
	v_mov_b32_e32 v91, 0                                       // 0000000031E4: 7EB60280
	s_mul_i32 s60, s88, s71                                    // 0000000031E8: 923C4758
	v_add_u32_e64 v92, v44, s60                                // 0000000031EC: D134005C 0000792C
	v_mov_b32_e32 v93, 0                                       // 0000000031F4: 7EBA0280
	s_mul_i32 s60, s89, s71                                    // 0000000031F8: 923C4759
	v_add_u32_e64 v94, v44, s60                                // 0000000031FC: D134005E 0000792C
	v_mov_b32_e32 v95, 0                                       // 000000003204: 7EBE0280
	s_mul_i32 s60, s7, 0x820                                   // 000000003208: 923CFF07 00000820
	s_add_u32 s50, 0, s60                                      // 000000003210: 80323C80
	s_add_u32 s51, 0x2080, s50                                 // 000000003214: 803332FF 00002080
	v_lshrrev_b32_e32 v44, 4, v0                               // 00000000321C: 20580084
	v_lshlrev_b32_e32 v45, 2, v44                              // 000000003220: 245A5882
	v_and_b32_e32 v44, 15, v0                                  // 000000003224: 2658008F
	v_lshrrev_b32_e32 v46, 2, v44                              // 000000003228: 205C5882
	v_lshlrev_b32_e32 v46, 6, v46                              // 00000000322C: 245C5C86
	v_add_u32_e32 v45, v46, v45                                // 000000003230: 685A5B2E
	v_and_b32_e32 v44, 3, v0                                   // 000000003234: 26580083
	v_mul_i32_i24_e32 v46, 0x208, v44                          // 000000003238: 0C5C58FF 00000208
	v_add_u32_e32 v45, v46, v45                                // 000000003240: 685A5B2E
	v_lshlrev_b32_e32 v2, 2, v45                               // 000000003244: 24045A82
	s_mul_i32 s60, s2, 0xc0                                    // 000000003248: 923CFF02 000000C0
	s_mul_i32 s60, s60, s69                                    // 000000003250: 923C453C
	s_mul_i32 s61, s5, s72                                     // 000000003254: 923D4805
	s_add_u32 s60, s61, s60                                    // 000000003258: 803C3C3D
	s_add_u32 s24, s60, s24                                    // 00000000325C: 8018183C
	s_addc_u32 s25, 0, s25                                     // 000000003260: 82191980
	s_mul_i32 s60, s7, 16                                      // 000000003264: 923C9007
	s_mul_i32 s60, s60, s69                                    // 000000003268: 923C453C
	v_lshlrev_b32_e32 v32, 4, v0                               // 00000000326C: 24400084
	v_add_u32_e32 v32, s60, v32                                // 000000003270: 6840403C
	s_mul_i32 s60, 64, s69                                     // 000000003274: 923C45C0
	v_add_u32_e32 v33, s60, v32                                // 000000003278: 6842403C
	v_add_u32_e32 v34, s60, v33                                // 00000000327C: 6844423C
	s_mov_b32 s92, s24                                         // 000000003280: BEDC0018
	s_mov_b32 s93, s25                                         // 000000003284: BEDD0019
	s_mov_b32 s94, s26                                         // 000000003288: BEDE001A
	s_mov_b32 s95, s27                                         // 00000000328C: BEDF001B
	s_mul_i32 s60, s69, s65                                    // 000000003290: 923C4145
	s_add_u32 s92, s60, s92                                    // 000000003294: 805C5C3C
	s_addc_u32 s93, 0, s93                                     // 000000003298: 825D5D80
	s_mul_i32 s60, s2, 0xc00                                   // 00000000329C: 923CFF02 00000C00
	s_mul_i32 s61, s5, s73                                     // 0000000032A4: 923D4905
	s_add_u32 s60, s61, s60                                    // 0000000032A8: 803C3C3D
	s_add_u32 s12, s60, s12                                    // 0000000032AC: 800C0C3C
	s_addc_u32 s13, 0, s13                                     // 0000000032B0: 820D0D80
	s_mul_i32 s60, s7, 16                                      // 0000000032B4: 923C9007
	s_mul_i32 s60, s60, s70                                    // 0000000032B8: 923C463C
	v_lshlrev_b32_e32 v35, 4, v0                               // 0000000032BC: 24460084
	v_add_u32_e32 v35, s60, v35                                // 0000000032C0: 6846463C
	s_mul_i32 s60, 64, s70                                     // 0000000032C4: 923C46C0
	v_add_u32_e32 v36, s60, v35                                // 0000000032C8: 6848463C
	v_add_u32_e32 v37, s60, v36                                // 0000000032CC: 684A483C
	v_add_u32_e32 v38, s60, v37                                // 0000000032D0: 684C4A3C
	s_mul_i32 s60, s70, 0x100                                  // 0000000032D4: 923CFF46 00000100
	s_mov_b32 s78, 0x400                                       // 0000000032DC: BECE00FF 00000400
	s_mul_i32 s61, s78, 2                                      // 0000000032E4: 923D824E
	s_sub_u32 s56, s60, s61                                    // 0000000032E8: 80B83D3C
	s_mul_i32 s60, s3, 32                                      // 0000000032EC: 923CA003
	s_mul_i32 s60, 4, s60                                      // 0000000032F0: 923C3C84
	s_add_u32 s40, s60, s40                                    // 0000000032F4: 8028283C
	s_addc_u32 s41, 0, s41                                     // 0000000032F8: 82292980
	v_and_b32_e32 v44, 15, v0                                  // 0000000032FC: 2658008F
	v_lshlrev_b32_e32 v8, 2, v44                               // 000000003300: 24105882
	v_add_u32_e32 v9, 64, v8                                   // 000000003304: 681210C0
	v_lshrrev_b32_e32 v44, 4, v0                               // 000000003308: 20580084
	v_lshlrev_b32_e32 v45, 2, v44                              // 00000000330C: 245A5882
	v_and_b32_e32 v44, 15, v0                                  // 000000003310: 2658008F
	v_lshrrev_b32_e32 v46, 2, v44                              // 000000003314: 205C5882
	v_lshlrev_b32_e32 v46, 6, v46                              // 000000003318: 245C5C86
	v_add_u32_e32 v45, v46, v45                                // 00000000331C: 685A5B2E
	v_and_b32_e32 v44, 3, v0                                   // 000000003320: 26580083
	v_add_u32_e32 v45, v44, v45                                // 000000003324: 685A5B2C
	v_lshlrev_b32_e32 v10, 2, v45                              // 000000003328: 24145A82
	v_add_u32_e32 v11, 0x400, v10                              // 00000000332C: 681614FF 00000400
	s_mul_i32 s60, s7, 16                                      // 000000003334: 923C9007
	s_mul_i32 s60, s60, 4                                      // 000000003338: 923C843C
	v_add_u32_e32 v10, s60, v10                                // 00000000333C: 6814143C
	v_add_u32_e32 v11, s60, v11                                // 000000003340: 6816163C
	v_mov_b32_e32 v5, v10                                      // 000000003344: 7E0A030A
	s_mul_i32 s60, s2, 0xc0                                    // 000000003348: 923CFF02 000000C0
	s_mul_i32 s60, s60, 4                                      // 000000003350: 923C843C
	s_mul_i32 s61, s5, s74                                     // 000000003354: 923D4A05
	s_add_u32 s61, s61, s60                                    // 000000003358: 803D3C3D
	s_mul_i32 s62, s5, s76                                     // 00000000335C: 923E4C05
	s_add_u32 s62, s62, s60                                    // 000000003360: 803E3C3E
	s_add_u32 s32, s61, s32                                    // 000000003364: 8020203D
	s_addc_u32 s33, 0, s33                                     // 000000003368: 82212180
	s_add_u32 s36, s62, s36                                    // 00000000336C: 8024243E
	s_addc_u32 s37, 0, s37                                     // 000000003370: 82252580
	s_mul_i32 s60, s5, s75                                     // 000000003374: 923C4B05
	s_add_u32 s16, s60, s16                                    // 000000003378: 8010103C
	s_addc_u32 s17, 0, s17                                     // 00000000337C: 82111180
	s_mov_b32 s57, 0x100                                       // 000000003380: BEB900FF 00000100
	s_mov_b32 s58, 0x1000                                      // 000000003388: BEBA00FF 00001000
	s_mov_b32 s79, 0x400                                       // 000000003390: BECF00FF 00000400
	s_mov_b32 s59, 0                                           // 000000003398: BEBB0080
	s_mov_b32 s90, s58                                         // 00000000339C: BEDA003A
	s_mov_b32 s52, 0x7060302                                   // 0000000033A0: BEB400FF 07060302
	s_mov_b32 s53, 0x400                                       // 0000000033A8: BEB500FF 00000400
	s_mov_b32 s54, 0x40100                                     // 0000000033B0: BEB600FF 00040100
	s_mov_b32 s55, 0x4020100                                   // 0000000033B8: BEB700FF 04020100
	s_mov_b32 s6, 0x3fb8aa3b                                   // 0000000033C0: BE8600FF 3FB8AA3B
	s_mov_b32 s77, 0xbd92220c                                  // 0000000033C8: BECD00FF BD92220C
	s_mov_b32 m0, s50                                          // 0000000033D0: BEFC0032
	v_mov_b32_e32 v1, 0xbfcc4231                               // 0000000033D4: 7E0202FF BFCC4231
	v_mov_b32_e32 v40, 0xffff0000                              // 0000000033DC: 7E5002FF FFFF0000
	v_mov_b32_e32 v41, 0x7fff0000                              // 0000000033E4: 7E5202FF 7FFF0000
	v_mov_b32_e32 v42, 0x7fff                                  // 0000000033EC: 7E5402FF 00007FFF
	s_waitcnt vmcnt(0) expcnt(0) lgkmcnt(0)                    // 0000000033F4: BF8C0000
	v_and_b32_e32 v6, 0xffffff, v6                             // 0000000033F8: 260C0CFF 00FFFFFF
	v_and_b32_e32 v7, 0xffffff, v7                             // 000000003400: 260E0EFF 00FFFFFF
	v_lshlrev_b32_e32 v6, 2, v6                                // 000000003408: 240C0C82
	v_lshlrev_b32_e32 v7, 2, v7                                // 00000000340C: 240E0E82
	buffer_load_dword v13, v6, s[28:31], 0 offen               // 000000003410: E0501000 80070D06
	buffer_load_dword v14, v7, s[28:31], 0 offen               // 000000003418: E0501000 80070E07
	buffer_load_dword v15, v10, s[32:35], 0 offen              // 000000003420: E0501000 80080F0A
	buffer_load_dword v16, v11, s[32:35], 0 offen              // 000000003428: E0501000 8008100B
	s_mul_i32 s60, 4, s65                                      // 000000003430: 923C4184
	s_add_u32 s32, s60, s32                                    // 000000003434: 8020203C
	s_addc_u32 s33, 0, s33                                     // 000000003438: 82212180
	buffer_load_dword v43, v10, s[32:35], 0 offen              // 00000000343C: E0501000 80082B0A
	buffer_load_dword v44, v11, s[32:35], 0 offen              // 000000003444: E0501000 80082C0B
	buffer_load_dword v17, v8, s[40:43], 0 offen               // 00000000344C: E0501000 800A1108
	buffer_load_dword v18, v9, s[40:43], 0 offen               // 000000003454: E0501000 800A1209
	buffer_load_dword v24, s[20:23], 0 offen lds               // 00000000345C: E0511000 80050018
	s_add_u32 m0, 0x100, s50                                   // 000000003464: 807C32FF 00000100
	buffer_load_dword v25, s[20:23], 0 offen lds               // 00000000346C: E0511000 80050019
	s_add_u32 m0, 0x200, s50                                   // 000000003474: 807C32FF 00000200
	buffer_load_dword v26, s[20:23], 0 offen lds               // 00000000347C: E0511000 8005001A
	s_add_u32 m0, 0x300, s50                                   // 000000003484: 807C32FF 00000300
	buffer_load_dword v27, s[20:23], 0 offen lds               // 00000000348C: E0511000 8005001B
	s_add_u32 m0, 0x400, s50                                   // 000000003494: 807C32FF 00000400
	buffer_load_dword v28, s[20:23], 0 offen lds               // 00000000349C: E0511000 8005001C
	s_add_u32 m0, 0x500, s50                                   // 0000000034A4: 807C32FF 00000500
	buffer_load_dword v29, s[20:23], 0 offen lds               // 0000000034AC: E0511000 8005001D
	s_add_u32 m0, 0x600, s50                                   // 0000000034B4: 807C32FF 00000600
	buffer_load_dword v30, s[20:23], 0 offen lds               // 0000000034BC: E0511000 8005001E
	s_add_u32 m0, 0x700, s50                                   // 0000000034C4: 807C32FF 00000700
	buffer_load_dword v31, s[20:23], 0 offen lds               // 0000000034CC: E0511000 8005001F
	s_add_u32 m0, 0, s51                                       // 0000000034D4: 807C3380
	s_add_u32 s20, s57, s20                                    // 0000000034D8: 80141439
	s_addc_u32 s21, 0, s21                                     // 0000000034DC: 82151580
	buffer_load_dwordx4 a[0:3], v32, s[24:27], 0 offen         // 0000000034E0: E05C1000 80860020
	buffer_load_dwordx4 a[4:7], v32, s[24:27], 0 offen offset:1024// 0000000034E8: E05C1400 80860420
	buffer_load_dwordx4 a[8:11], v32, s[24:27], 0 offen offset:2048// 0000000034F0: E05C1800 80860820
	buffer_load_dwordx4 a[12:15], v32, s[24:27], 0 offen offset:3072// 0000000034F8: E05C1C00 80860C20
	buffer_load_dwordx4 a[16:19], v33, s[24:27], 0 offen       // 000000003500: E05C1000 80861021
	buffer_load_dwordx4 a[20:23], v33, s[24:27], 0 offen offset:1024// 000000003508: E05C1400 80861421
	buffer_load_dwordx4 a[24:27], v33, s[24:27], 0 offen offset:2048// 000000003510: E05C1800 80861821
	buffer_load_dwordx4 a[28:31], v33, s[24:27], 0 offen offset:3072// 000000003518: E05C1C00 80861C21
	buffer_load_dwordx4 a[32:35], v34, s[24:27], 0 offen       // 000000003520: E05C1000 80862022
	buffer_load_dwordx4 a[36:39], v34, s[24:27], 0 offen offset:1024// 000000003528: E05C1400 80862422
	buffer_load_dwordx4 a[40:43], v34, s[24:27], 0 offen offset:2048// 000000003530: E05C1800 80862822
	buffer_load_dwordx4 a[44:47], v34, s[24:27], 0 offen offset:3072// 000000003538: E05C1C00 80862C22
	s_add_u32 s24, s58, s24                                    // 000000003540: 8018183A
	s_addc_u32 s25, 0, s25                                     // 000000003544: 82191980
	v_mov_b32_e32 v128, 0                                      // 000000003548: 7F000280
	v_mov_b32_e32 v64, 0                                       // 00000000354C: 7E800280
	v_mov_b32_e32 v129, 0                                      // 000000003550: 7F020280
	v_mov_b32_e32 v65, 0                                       // 000000003554: 7E820280
	v_mov_b32_e32 v130, 0                                      // 000000003558: 7F040280
	v_mov_b32_e32 v66, 0                                       // 00000000355C: 7E840280
	v_mov_b32_e32 v131, 0                                      // 000000003560: 7F060280
	v_mov_b32_e32 v67, 0                                       // 000000003564: 7E860280
	v_mov_b32_e32 v132, 0                                      // 000000003568: 7F080280
	v_mov_b32_e32 v68, 0                                       // 00000000356C: 7E880280
	v_mov_b32_e32 v133, 0                                      // 000000003570: 7F0A0280
	v_mov_b32_e32 v69, 0                                       // 000000003574: 7E8A0280
	v_mov_b32_e32 v134, 0                                      // 000000003578: 7F0C0280
	v_mov_b32_e32 v70, 0                                       // 00000000357C: 7E8C0280
	v_mov_b32_e32 v135, 0                                      // 000000003580: 7F0E0280
	v_mov_b32_e32 v71, 0                                       // 000000003584: 7E8E0280
	v_mov_b32_e32 v136, 0                                      // 000000003588: 7F100280
	v_mov_b32_e32 v72, 0                                       // 00000000358C: 7E900280
	v_mov_b32_e32 v137, 0                                      // 000000003590: 7F120280
	v_mov_b32_e32 v73, 0                                       // 000000003594: 7E920280
	v_mov_b32_e32 v138, 0                                      // 000000003598: 7F140280
	v_mov_b32_e32 v74, 0                                       // 00000000359C: 7E940280
	v_mov_b32_e32 v139, 0                                      // 0000000035A0: 7F160280
	v_mov_b32_e32 v75, 0                                       // 0000000035A4: 7E960280
	v_mov_b32_e32 v140, 0                                      // 0000000035A8: 7F180280
	v_mov_b32_e32 v76, 0                                       // 0000000035AC: 7E980280
	v_mov_b32_e32 v141, 0                                      // 0000000035B0: 7F1A0280
	v_mov_b32_e32 v77, 0                                       // 0000000035B4: 7E9A0280
	v_mov_b32_e32 v142, 0                                      // 0000000035B8: 7F1C0280
	v_mov_b32_e32 v78, 0                                       // 0000000035BC: 7E9C0280
	v_mov_b32_e32 v143, 0                                      // 0000000035C0: 7F1E0280
	v_mov_b32_e32 v79, 0                                       // 0000000035C4: 7E9E0280
	v_mov_b32_e32 v144, 0                                      // 0000000035C8: 7F200280
	v_mov_b32_e32 v80, 0                                       // 0000000035CC: 7EA00280
	v_mov_b32_e32 v145, 0                                      // 0000000035D0: 7F220280
	v_mov_b32_e32 v81, 0                                       // 0000000035D4: 7EA20280
	v_mov_b32_e32 v146, 0                                      // 0000000035D8: 7F240280
	v_mov_b32_e32 v82, 0                                       // 0000000035DC: 7EA40280
	v_mov_b32_e32 v147, 0                                      // 0000000035E0: 7F260280
	v_mov_b32_e32 v83, 0                                       // 0000000035E4: 7EA60280
	v_mov_b32_e32 v148, 0                                      // 0000000035E8: 7F280280
	v_mov_b32_e32 v84, 0                                       // 0000000035EC: 7EA80280
	v_mov_b32_e32 v149, 0                                      // 0000000035F0: 7F2A0280
	v_mov_b32_e32 v85, 0                                       // 0000000035F4: 7EAA0280
	v_mov_b32_e32 v150, 0                                      // 0000000035F8: 7F2C0280
	v_mov_b32_e32 v86, 0                                       // 0000000035FC: 7EAC0280
	v_mov_b32_e32 v151, 0                                      // 000000003600: 7F2E0280
	v_mov_b32_e32 v87, 0                                       // 000000003604: 7EAE0280
	v_lshrrev_b32_e32 v44, 4, v0                               // 000000003608: 20580084
	v_mul_i32_i24_e32 v3, 34, v44                              // 00000000360C: 0C0658A2
	v_and_b32_e32 v44, 15, v0                                  // 000000003610: 2658008F
	v_mul_i32_i24_e32 v45, 2, v44                              // 000000003614: 0C5A5882
	v_add_u32_e32 v3, v45, v3                                  // 000000003618: 6806072D
	s_mul_i32 s60, s7, 0x88                                    // 00000000361C: 923CFF07 00000088
	v_add_u32_e32 v3, s60, v3                                  // 000000003624: 6806063C
	v_lshlrev_b32_e32 v3, 2, v3                                // 000000003628: 24060682
	v_lshrrev_b32_e32 v44, 1, v0                               // 00000000362C: 20580081
	v_mul_i32_i24_e32 v4, 34, v44                              // 000000003630: 0C0858A2
	v_and_b32_e32 v45, 1, v0                                   // 000000003634: 265A0081
	v_add_u32_e32 v4, v45, v4                                  // 000000003638: 6808092D
	s_mul_i32 s60, s7, 2                                       // 00000000363C: 923C8207
	v_add_u32_e32 v4, s60, v4                                  // 000000003640: 6808083C
	v_lshlrev_b32_e32 v4, 2, v4                                // 000000003644: 24080882
	s_waitcnt vmcnt(12)                                        // 000000003648: BF8C0F7C
	s_barrier                                                  // 00000000364C: BF8A0000
	ds_read_b128 v[152:155], v2                                // 000000003650: D9FE0000 98000002
	ds_read_b128 v[156:159], v2 offset:64                      // 000000003658: D9FE0040 9C000002
	ds_read_b128 v[160:163], v2 offset:128                     // 000000003660: D9FE0080 A0000002
	ds_read_b128 v[164:167], v2 offset:192                     // 000000003668: D9FE00C0 A4000002
	ds_read_b128 v[168:171], v2 offset:1024                    // 000000003670: D9FE0400 A8000002
	ds_read_b128 v[172:175], v2 offset:1088                    // 000000003678: D9FE0440 AC000002
	ds_read_b128 v[176:179], v2 offset:1152                    // 000000003680: D9FE0480 B0000002
	ds_read_b128 v[180:183], v2 offset:1216                    // 000000003688: D9FE04C0 B4000002
	s_cmp_lt_i32 s7, 2                                         // 000000003690: BF048207
	s_cbranch_scc0 label_0A9C                                  // 000000003694: BF840876

0000000000003698 <label_0226>:
	s_waitcnt vmcnt(4) lgkmcnt(0)                              // 000000003698: BF8C0074
	s_barrier                                                  // 00000000369C: BF8A0000
	v_mfma_f32_16x16x32_fp8_fp8 v[128:131], a[0:1], v[152:153], v[128:131]// 0000000036A0: D3F30080 0E033100
	v_mfma_f32_16x16x32_fp8_fp8 v[128:131], a[2:3], v[154:155], v[128:131]// 0000000036A8: D3F30080 0E033502
	buffer_load_dwordx4 a[48:51], v32, s[92:95], 0 offen       // 0000000036B0: E05C1000 80973020
	v_mfma_f32_16x16x32_fp8_fp8 v[128:131], a[4:5], v[156:157], v[128:131]// 0000000036B8: D3F30080 0E033904
	v_mfma_f32_16x16x32_fp8_fp8 v[128:131], a[6:7], v[158:159], v[128:131]// 0000000036C0: D3F30080 0E033D06
	buffer_load_dword v24, s[20:23], 0 offen lds               // 0000000036C8: E0511000 80050018
	s_add_u32 m0, 0x100, s51                                   // 0000000036D0: 807C33FF 00000100
	v_mfma_f32_16x16x32_fp8_fp8 v[128:131], a[8:9], v[160:161], v[128:131]// 0000000036D8: D3F30080 0E034108
	v_mfma_f32_16x16x32_fp8_fp8 v[128:131], a[10:11], v[162:163], v[128:131]// 0000000036E0: D3F30080 0E03450A
	buffer_load_dwordx4 a[52:55], v32, s[92:95], 0 offen offset:1024// 0000000036E8: E05C1400 80973420
	v_mfma_f32_16x16x32_fp8_fp8 v[128:131], a[12:13], v[164:165], v[128:131]// 0000000036F0: D3F30080 0E03490C
	v_mfma_f32_16x16x32_fp8_fp8 v[128:131], a[14:15], v[166:167], v[128:131]// 0000000036F8: D3F30080 0E034D0E
	buffer_load_dword v25, s[20:23], 0 offen lds               // 000000003700: E0511000 80050019
	s_add_u32 m0, 0x200, s51                                   // 000000003708: 807C33FF 00000200
	v_mfma_f32_16x16x32_fp8_fp8 v[132:135], a[0:1], v[168:169], v[132:135]// 000000003710: D3F30084 0E135100
	v_mfma_f32_16x16x32_fp8_fp8 v[132:135], a[2:3], v[170:171], v[132:135]// 000000003718: D3F30084 0E135502
	buffer_load_dwordx4 a[56:59], v32, s[92:95], 0 offen offset:2048// 000000003720: E05C1800 80973820
	v_mfma_f32_16x16x32_fp8_fp8 v[132:135], a[4:5], v[172:173], v[132:135]// 000000003728: D3F30084 0E135904
	v_mfma_f32_16x16x32_fp8_fp8 v[132:135], a[6:7], v[174:175], v[132:135]// 000000003730: D3F30084 0E135D06
	buffer_load_dword v26, s[20:23], 0 offen lds               // 000000003738: E0511000 8005001A
	s_add_u32 m0, 0x300, s51                                   // 000000003740: 807C33FF 00000300
	v_mfma_f32_16x16x32_fp8_fp8 v[132:135], a[8:9], v[176:177], v[132:135]// 000000003748: D3F30084 0E136108
	v_mfma_f32_16x16x32_fp8_fp8 v[132:135], a[10:11], v[178:179], v[132:135]// 000000003750: D3F30084 0E13650A
	buffer_load_dwordx4 a[60:63], v32, s[92:95], 0 offen offset:3072// 000000003758: E05C1C00 80973C20
	v_mfma_f32_16x16x32_fp8_fp8 v[132:135], a[12:13], v[180:181], v[132:135]// 000000003760: D3F30084 0E13690C
	v_mfma_f32_16x16x32_fp8_fp8 v[132:135], a[14:15], v[182:183], v[132:135]// 000000003768: D3F30084 0E136D0E
	buffer_load_dword v27, s[20:23], 0 offen lds               // 000000003770: E0511000 8005001B
	s_add_u32 m0, 0x400, s51                                   // 000000003778: 807C33FF 00000400
	v_mfma_f32_16x16x32_fp8_fp8 v[136:139], a[16:17], v[152:153], v[136:139]// 000000003780: D3F30088 0E233110
	v_mfma_f32_16x16x32_fp8_fp8 v[136:139], a[18:19], v[154:155], v[136:139]// 000000003788: D3F30088 0E233512
	buffer_load_dwordx4 a[64:67], v33, s[92:95], 0 offen       // 000000003790: E05C1000 80974021
	v_mfma_f32_16x16x32_fp8_fp8 v[136:139], a[20:21], v[156:157], v[136:139]// 000000003798: D3F30088 0E233914
	v_mfma_f32_16x16x32_fp8_fp8 v[136:139], a[22:23], v[158:159], v[136:139]// 0000000037A0: D3F30088 0E233D16
	buffer_load_dword v28, s[20:23], 0 offen lds               // 0000000037A8: E0511000 8005001C
	s_add_u32 m0, 0x500, s51                                   // 0000000037B0: 807C33FF 00000500
	v_mfma_f32_16x16x32_fp8_fp8 v[136:139], a[24:25], v[160:161], v[136:139]// 0000000037B8: D3F30088 0E234118
	v_mfma_f32_16x16x32_fp8_fp8 v[136:139], a[26:27], v[162:163], v[136:139]// 0000000037C0: D3F30088 0E23451A
	buffer_load_dwordx4 a[68:71], v33, s[92:95], 0 offen offset:1024// 0000000037C8: E05C1400 80974421
	v_mfma_f32_16x16x32_fp8_fp8 v[136:139], a[28:29], v[164:165], v[136:139]// 0000000037D0: D3F30088 0E23491C
	v_mfma_f32_16x16x32_fp8_fp8 v[136:139], a[30:31], v[166:167], v[136:139]// 0000000037D8: D3F30088 0E234D1E
	buffer_load_dword v29, s[20:23], 0 offen lds               // 0000000037E0: E0511000 8005001D
	s_add_u32 m0, 0x600, s51                                   // 0000000037E8: 807C33FF 00000600
	v_mfma_f32_16x16x32_fp8_fp8 v[140:143], a[16:17], v[168:169], v[140:143]// 0000000037F0: D3F3008C 0E335110
	v_mfma_f32_16x16x32_fp8_fp8 v[140:143], a[18:19], v[170:171], v[140:143]// 0000000037F8: D3F3008C 0E335512
	buffer_load_dwordx4 a[72:75], v33, s[92:95], 0 offen offset:2048// 000000003800: E05C1800 80974821
	v_mfma_f32_16x16x32_fp8_fp8 v[140:143], a[20:21], v[172:173], v[140:143]// 000000003808: D3F3008C 0E335914
	v_mfma_f32_16x16x32_fp8_fp8 v[140:143], a[22:23], v[174:175], v[140:143]// 000000003810: D3F3008C 0E335D16
	buffer_load_dword v30, s[20:23], 0 offen lds               // 000000003818: E0511000 8005001E
	s_add_u32 m0, 0x700, s51                                   // 000000003820: 807C33FF 00000700
	v_mfma_f32_16x16x32_fp8_fp8 v[140:143], a[24:25], v[176:177], v[140:143]// 000000003828: D3F3008C 0E336118
	v_mfma_f32_16x16x32_fp8_fp8 v[140:143], a[26:27], v[178:179], v[140:143]// 000000003830: D3F3008C 0E33651A
	buffer_load_dwordx4 a[76:79], v33, s[92:95], 0 offen offset:3072// 000000003838: E05C1C00 80974C21
	v_mfma_f32_16x16x32_fp8_fp8 v[140:143], a[28:29], v[180:181], v[140:143]// 000000003840: D3F3008C 0E33691C
	v_mfma_f32_16x16x32_fp8_fp8 v[140:143], a[30:31], v[182:183], v[140:143]// 000000003848: D3F3008C 0E336D1E
	buffer_load_dword v31, s[20:23], 0 offen lds               // 000000003850: E0511000 8005001F
	s_add_u32 m0, 0, s50                                       // 000000003858: 807C3280
	s_waitcnt vmcnt(16)                                        // 00000000385C: BF8C4F70
	v_mfma_f32_16x16x32_fp8_fp8 v[144:147], a[32:33], v[152:153], v[144:147]// 000000003860: D3F30090 0E433120
	v_mfma_f32_16x16x32_fp8_fp8 v[144:147], a[34:35], v[154:155], v[144:147]// 000000003868: D3F30090 0E433522
	buffer_load_dwordx4 a[80:83], v34, s[92:95], 0 offen       // 000000003870: E05C1000 80975022
	v_mfma_f32_16x16x32_fp8_fp8 v[144:147], a[36:37], v[156:157], v[144:147]// 000000003878: D3F30090 0E433924
	v_mfma_f32_16x16x32_fp8_fp8 v[144:147], a[38:39], v[158:159], v[144:147]// 000000003880: D3F30090 0E433D26
	v_mfma_f32_16x16x32_fp8_fp8 v[144:147], a[40:41], v[160:161], v[144:147]// 000000003888: D3F30090 0E434128
	v_mfma_f32_16x16x32_fp8_fp8 v[144:147], a[42:43], v[162:163], v[144:147]// 000000003890: D3F30090 0E43452A
	buffer_load_dwordx4 a[84:87], v34, s[92:95], 0 offen offset:1024// 000000003898: E05C1400 80975422
	v_mfma_f32_16x16x32_fp8_fp8 v[144:147], a[44:45], v[164:165], v[144:147]// 0000000038A0: D3F30090 0E43492C
	v_mfma_f32_16x16x32_fp8_fp8 v[144:147], a[46:47], v[166:167], v[144:147]// 0000000038A8: D3F30090 0E434D2E
	v_mfma_f32_16x16x32_fp8_fp8 v[148:151], a[32:33], v[168:169], v[148:151]// 0000000038B0: D3F30094 0E535120
	v_mfma_f32_16x16x32_fp8_fp8 v[148:151], a[34:35], v[170:171], v[148:151]// 0000000038B8: D3F30094 0E535522
	buffer_load_dwordx4 a[88:91], v34, s[92:95], 0 offen offset:2048// 0000000038C0: E05C1800 80975822
	v_mfma_f32_16x16x32_fp8_fp8 v[148:151], a[36:37], v[172:173], v[148:151]// 0000000038C8: D3F30094 0E535924
	v_mfma_f32_16x16x32_fp8_fp8 v[148:151], a[38:39], v[174:175], v[148:151]// 0000000038D0: D3F30094 0E535D26
	v_mfma_f32_16x16x32_fp8_fp8 v[148:151], a[40:41], v[176:177], v[148:151]// 0000000038D8: D3F30094 0E536128
	v_mfma_f32_16x16x32_fp8_fp8 v[148:151], a[42:43], v[178:179], v[148:151]// 0000000038E0: D3F30094 0E53652A
	buffer_load_dwordx4 a[92:95], v34, s[92:95], 0 offen offset:3072// 0000000038E8: E05C1C00 80975C22
	v_mfma_f32_16x16x32_fp8_fp8 v[148:151], a[44:45], v[180:181], v[148:151]// 0000000038F0: D3F30094 0E53692C
	v_mfma_f32_16x16x32_fp8_fp8 v[148:151], a[46:47], v[182:183], v[148:151]// 0000000038F8: D3F30094 0E536D2E
	s_waitcnt vmcnt(4)                                         // 000000003900: BF8C0F74
	s_barrier                                                  // 000000003904: BF8A0000
	v_mfma_f32_16x16x32_fp8_fp8 v[64:67], a[48:49], v[152:153], v[64:67]// 000000003908: D3F30040 0D033130
	v_mfma_f32_16x16x32_fp8_fp8 v[64:67], a[50:51], v[154:155], v[64:67]// 000000003910: D3F30040 0D033532
	buffer_load_dwordx4 a[0:3], v32, s[24:27], 0 offen         // 000000003918: E05C1000 80860020
	v_mfma_f32_16x16x32_fp8_fp8 v[64:67], a[52:53], v[156:157], v[64:67]// 000000003920: D3F30040 0D033934
	v_mfma_f32_16x16x32_fp8_fp8 v[64:67], a[54:55], v[158:159], v[64:67]// 000000003928: D3F30040 0D033D36
	v_mfma_f32_16x16x32_fp8_fp8 v[64:67], a[56:57], v[160:161], v[64:67]// 000000003930: D3F30040 0D034138
	v_mfma_f32_16x16x32_fp8_fp8 v[64:67], a[58:59], v[162:163], v[64:67]// 000000003938: D3F30040 0D03453A
	buffer_load_dwordx4 a[4:7], v32, s[24:27], 0 offen offset:1024// 000000003940: E05C1400 80860420
	v_mfma_f32_16x16x32_fp8_fp8 v[64:67], a[60:61], v[164:165], v[64:67]// 000000003948: D3F30040 0D03493C
	v_mfma_f32_16x16x32_fp8_fp8 v[64:67], a[62:63], v[166:167], v[64:67]// 000000003950: D3F30040 0D034D3E
	v_mfma_f32_16x16x32_fp8_fp8 v[68:71], a[48:49], v[168:169], v[68:71]// 000000003958: D3F30044 0D135130
	v_mfma_f32_16x16x32_fp8_fp8 v[68:71], a[50:51], v[170:171], v[68:71]// 000000003960: D3F30044 0D135532
	buffer_load_dwordx4 a[8:11], v32, s[24:27], 0 offen offset:2048// 000000003968: E05C1800 80860820
	v_mfma_f32_16x16x32_fp8_fp8 v[68:71], a[52:53], v[172:173], v[68:71]// 000000003970: D3F30044 0D135934
	v_mfma_f32_16x16x32_fp8_fp8 v[68:71], a[54:55], v[174:175], v[68:71]// 000000003978: D3F30044 0D135D36
	v_mfma_f32_16x16x32_fp8_fp8 v[68:71], a[56:57], v[176:177], v[68:71]// 000000003980: D3F30044 0D136138
	v_mfma_f32_16x16x32_fp8_fp8 v[68:71], a[58:59], v[178:179], v[68:71]// 000000003988: D3F30044 0D13653A
	buffer_load_dwordx4 a[12:15], v32, s[24:27], 0 offen offset:3072// 000000003990: E05C1C00 80860C20
	v_mfma_f32_16x16x32_fp8_fp8 v[68:71], a[60:61], v[180:181], v[68:71]// 000000003998: D3F30044 0D13693C
	v_mfma_f32_16x16x32_fp8_fp8 v[68:71], a[62:63], v[182:183], v[68:71]// 0000000039A0: D3F30044 0D136D3E
	v_mfma_f32_16x16x32_fp8_fp8 v[72:75], a[64:65], v[152:153], v[72:75]// 0000000039A8: D3F30048 0D233140
	v_mfma_f32_16x16x32_fp8_fp8 v[72:75], a[66:67], v[154:155], v[72:75]// 0000000039B0: D3F30048 0D233542
	buffer_load_dwordx4 a[16:19], v33, s[24:27], 0 offen       // 0000000039B8: E05C1000 80861021
	v_mfma_f32_16x16x32_fp8_fp8 v[72:75], a[68:69], v[156:157], v[72:75]// 0000000039C0: D3F30048 0D233944
	v_mfma_f32_16x16x32_fp8_fp8 v[72:75], a[70:71], v[158:159], v[72:75]// 0000000039C8: D3F30048 0D233D46
	ds_read_b128 v[184:187], v2 offset:8320                    // 0000000039D0: D9FE2080 B8000002
	v_mfma_f32_16x16x32_fp8_fp8 v[72:75], a[72:73], v[160:161], v[72:75]// 0000000039D8: D3F30048 0D234148
	v_mfma_f32_16x16x32_fp8_fp8 v[72:75], a[74:75], v[162:163], v[72:75]// 0000000039E0: D3F30048 0D23454A
	buffer_load_dwordx4 a[20:23], v33, s[24:27], 0 offen offset:1024// 0000000039E8: E05C1400 80861421
	v_mfma_f32_16x16x32_fp8_fp8 v[72:75], a[76:77], v[164:165], v[72:75]// 0000000039F0: D3F30048 0D23494C
	v_mfma_f32_16x16x32_fp8_fp8 v[72:75], a[78:79], v[166:167], v[72:75]// 0000000039F8: D3F30048 0D234D4E
	ds_read_b128 v[188:191], v2 offset:8384                    // 000000003A00: D9FE20C0 BC000002
	v_mfma_f32_16x16x32_fp8_fp8 v[76:79], a[64:65], v[168:169], v[76:79]// 000000003A08: D3F3004C 0D335140
	v_mfma_f32_16x16x32_fp8_fp8 v[76:79], a[66:67], v[170:171], v[76:79]// 000000003A10: D3F3004C 0D335542
	buffer_load_dwordx4 a[24:27], v33, s[24:27], 0 offen offset:2048// 000000003A18: E05C1800 80861821
	v_mfma_f32_16x16x32_fp8_fp8 v[76:79], a[68:69], v[172:173], v[76:79]// 000000003A20: D3F3004C 0D335944
	v_mfma_f32_16x16x32_fp8_fp8 v[76:79], a[70:71], v[174:175], v[76:79]// 000000003A28: D3F3004C 0D335D46
	ds_read_b128 v[192:195], v2 offset:8448                    // 000000003A30: D9FE2100 C0000002
	v_mfma_f32_16x16x32_fp8_fp8 v[76:79], a[72:73], v[176:177], v[76:79]// 000000003A38: D3F3004C 0D336148
	v_mfma_f32_16x16x32_fp8_fp8 v[76:79], a[74:75], v[178:179], v[76:79]// 000000003A40: D3F3004C 0D33654A
	buffer_load_dwordx4 a[28:31], v33, s[24:27], 0 offen offset:3072// 000000003A48: E05C1C00 80861C21
	v_mfma_f32_16x16x32_fp8_fp8 v[76:79], a[76:77], v[180:181], v[76:79]// 000000003A50: D3F3004C 0D33694C
	v_mfma_f32_16x16x32_fp8_fp8 v[76:79], a[78:79], v[182:183], v[76:79]// 000000003A58: D3F3004C 0D336D4E
	ds_read_b128 v[196:199], v2 offset:8512                    // 000000003A60: D9FE2140 C4000002
	s_waitcnt vmcnt(8)                                         // 000000003A68: BF8C0F78
	v_mfma_f32_16x16x32_fp8_fp8 v[80:83], a[80:81], v[152:153], v[80:83]// 000000003A6C: D3F30050 0D433150
	v_mfma_f32_16x16x32_fp8_fp8 v[80:83], a[82:83], v[154:155], v[80:83]// 000000003A74: D3F30050 0D433552
	buffer_load_dwordx4 a[32:35], v34, s[24:27], 0 offen       // 000000003A7C: E05C1000 80862022
	v_mfma_f32_16x16x32_fp8_fp8 v[80:83], a[84:85], v[156:157], v[80:83]// 000000003A84: D3F30050 0D433954
	v_mfma_f32_16x16x32_fp8_fp8 v[80:83], a[86:87], v[158:159], v[80:83]// 000000003A8C: D3F30050 0D433D56
	ds_read_b128 v[200:203], v2 offset:9344                    // 000000003A94: D9FE2480 C8000002
	v_mfma_f32_16x16x32_fp8_fp8 v[80:83], a[88:89], v[160:161], v[80:83]// 000000003A9C: D3F30050 0D434158
	v_mfma_f32_16x16x32_fp8_fp8 v[80:83], a[90:91], v[162:163], v[80:83]// 000000003AA4: D3F30050 0D43455A
	buffer_load_dwordx4 a[36:39], v34, s[24:27], 0 offen offset:1024// 000000003AAC: E05C1400 80862422
	v_mfma_f32_16x16x32_fp8_fp8 v[80:83], a[92:93], v[164:165], v[80:83]// 000000003AB4: D3F30050 0D43495C
	v_mfma_f32_16x16x32_fp8_fp8 v[80:83], a[94:95], v[166:167], v[80:83]// 000000003ABC: D3F30050 0D434D5E
	ds_read_b128 v[204:207], v2 offset:9408                    // 000000003AC4: D9FE24C0 CC000002
	v_mfma_f32_16x16x32_fp8_fp8 v[84:87], a[80:81], v[168:169], v[84:87]// 000000003ACC: D3F30054 0D535150
	v_mfma_f32_16x16x32_fp8_fp8 v[84:87], a[82:83], v[170:171], v[84:87]// 000000003AD4: D3F30054 0D535552
	buffer_load_dwordx4 a[40:43], v34, s[24:27], 0 offen offset:2048// 000000003ADC: E05C1800 80862822
	v_mfma_f32_16x16x32_fp8_fp8 v[84:87], a[84:85], v[172:173], v[84:87]// 000000003AE4: D3F30054 0D535954
	v_mfma_f32_16x16x32_fp8_fp8 v[84:87], a[86:87], v[174:175], v[84:87]// 000000003AEC: D3F30054 0D535D56
	ds_read_b128 v[208:211], v2 offset:9472                    // 000000003AF4: D9FE2500 D0000002
	v_mfma_f32_16x16x32_fp8_fp8 v[84:87], a[88:89], v[176:177], v[84:87]// 000000003AFC: D3F30054 0D536158
	v_mfma_f32_16x16x32_fp8_fp8 v[84:87], a[90:91], v[178:179], v[84:87]// 000000003B04: D3F30054 0D53655A
	buffer_load_dwordx4 a[44:47], v34, s[24:27], 0 offen offset:3072// 000000003B0C: E05C1C00 80862C22
	v_mfma_f32_16x16x32_fp8_fp8 v[84:87], a[92:93], v[180:181], v[84:87]// 000000003B14: D3F30054 0D53695C
	v_mfma_f32_16x16x32_fp8_fp8 v[84:87], a[94:95], v[182:183], v[84:87]// 000000003B1C: D3F30054 0D536D5E
	ds_read_b128 v[212:215], v2 offset:9536                    // 000000003B24: D9FE2540 D4000002
	s_add_u32 s60, 0x200, s80                                  // 000000003B2C: 803C50FF 00000200
	s_cmp_lt_u32 s60, s81                                      // 000000003B34: BF0A513C
	s_cselect_b32 s57, s57, 0                                  // 000000003B38: 85398039
	s_add_u32 s60, 0x200, s80                                  // 000000003B3C: 803C50FF 00000200
	s_cmp_lt_u32 s60, s81                                      // 000000003B44: BF0A513C
	s_cselect_b32 s58, s58, 0                                  // 000000003B48: 853A803A
	s_add_u32 s20, s57, s20                                    // 000000003B4C: 80141439
	s_addc_u32 s21, 0, s21                                     // 000000003B50: 82151580
	s_add_u32 s24, s58, s24                                    // 000000003B54: 8018183A
	s_addc_u32 s25, 0, s25                                     // 000000003B58: 82191980
	s_add_u32 s92, s90, s92                                    // 000000003B5C: 805C5C5A
	s_addc_u32 s93, 0, s93                                     // 000000003B60: 825D5D80
	s_addk_i32 s80, 0x100                                      // 000000003B64: B7500100
	s_cmp_lt_i32 s80, s81                                      // 000000003B68: BF045150
	s_cbranch_scc0 label_0493                                  // 000000003B6C: BF840137
	s_waitcnt vmcnt(4) lgkmcnt(0)                              // 000000003B70: BF8C0074
	s_barrier                                                  // 000000003B74: BF8A0000
	v_mfma_f32_16x16x32_fp8_fp8 v[128:131], a[0:1], v[184:185], v[128:131]// 000000003B78: D3F30080 0E037100
	v_mfma_f32_16x16x32_fp8_fp8 v[128:131], a[2:3], v[186:187], v[128:131]// 000000003B80: D3F30080 0E037502
	buffer_load_dwordx4 a[48:51], v32, s[92:95], 0 offen       // 000000003B88: E05C1000 80973020
	v_mfma_f32_16x16x32_fp8_fp8 v[128:131], a[4:5], v[188:189], v[128:131]// 000000003B90: D3F30080 0E037904
	v_mfma_f32_16x16x32_fp8_fp8 v[128:131], a[6:7], v[190:191], v[128:131]// 000000003B98: D3F30080 0E037D06
	buffer_load_dword v24, s[20:23], 0 offen lds               // 000000003BA0: E0511000 80050018
	s_add_u32 m0, 0x100, s50                                   // 000000003BA8: 807C32FF 00000100
	v_mfma_f32_16x16x32_fp8_fp8 v[128:131], a[8:9], v[192:193], v[128:131]// 000000003BB0: D3F30080 0E038108
	v_mfma_f32_16x16x32_fp8_fp8 v[128:131], a[10:11], v[194:195], v[128:131]// 000000003BB8: D3F30080 0E03850A
	buffer_load_dwordx4 a[52:55], v32, s[92:95], 0 offen offset:1024// 000000003BC0: E05C1400 80973420
	v_mfma_f32_16x16x32_fp8_fp8 v[128:131], a[12:13], v[196:197], v[128:131]// 000000003BC8: D3F30080 0E03890C
	v_mfma_f32_16x16x32_fp8_fp8 v[128:131], a[14:15], v[198:199], v[128:131]// 000000003BD0: D3F30080 0E038D0E
	buffer_load_dword v25, s[20:23], 0 offen lds               // 000000003BD8: E0511000 80050019
	s_add_u32 m0, 0x200, s50                                   // 000000003BE0: 807C32FF 00000200
	v_mfma_f32_16x16x32_fp8_fp8 v[132:135], a[0:1], v[200:201], v[132:135]// 000000003BE8: D3F30084 0E139100
	v_mfma_f32_16x16x32_fp8_fp8 v[132:135], a[2:3], v[202:203], v[132:135]// 000000003BF0: D3F30084 0E139502
	buffer_load_dwordx4 a[56:59], v32, s[92:95], 0 offen offset:2048// 000000003BF8: E05C1800 80973820
	v_mfma_f32_16x16x32_fp8_fp8 v[132:135], a[4:5], v[204:205], v[132:135]// 000000003C00: D3F30084 0E139904
	v_mfma_f32_16x16x32_fp8_fp8 v[132:135], a[6:7], v[206:207], v[132:135]// 000000003C08: D3F30084 0E139D06
	buffer_load_dword v26, s[20:23], 0 offen lds               // 000000003C10: E0511000 8005001A
	s_add_u32 m0, 0x300, s50                                   // 000000003C18: 807C32FF 00000300
	v_mfma_f32_16x16x32_fp8_fp8 v[132:135], a[8:9], v[208:209], v[132:135]// 000000003C20: D3F30084 0E13A108
	v_mfma_f32_16x16x32_fp8_fp8 v[132:135], a[10:11], v[210:211], v[132:135]// 000000003C28: D3F30084 0E13A50A
	buffer_load_dwordx4 a[60:63], v32, s[92:95], 0 offen offset:3072// 000000003C30: E05C1C00 80973C20
	v_mfma_f32_16x16x32_fp8_fp8 v[132:135], a[12:13], v[212:213], v[132:135]// 000000003C38: D3F30084 0E13A90C
	v_mfma_f32_16x16x32_fp8_fp8 v[132:135], a[14:15], v[214:215], v[132:135]// 000000003C40: D3F30084 0E13AD0E
	buffer_load_dword v27, s[20:23], 0 offen lds               // 000000003C48: E0511000 8005001B
	s_add_u32 m0, 0x400, s50                                   // 000000003C50: 807C32FF 00000400
	v_mfma_f32_16x16x32_fp8_fp8 v[136:139], a[16:17], v[184:185], v[136:139]// 000000003C58: D3F30088 0E237110
	v_mfma_f32_16x16x32_fp8_fp8 v[136:139], a[18:19], v[186:187], v[136:139]// 000000003C60: D3F30088 0E237512
	buffer_load_dwordx4 a[64:67], v33, s[92:95], 0 offen       // 000000003C68: E05C1000 80974021
	v_mfma_f32_16x16x32_fp8_fp8 v[136:139], a[20:21], v[188:189], v[136:139]// 000000003C70: D3F30088 0E237914
	v_mfma_f32_16x16x32_fp8_fp8 v[136:139], a[22:23], v[190:191], v[136:139]// 000000003C78: D3F30088 0E237D16
	buffer_load_dword v28, s[20:23], 0 offen lds               // 000000003C80: E0511000 8005001C
	s_add_u32 m0, 0x500, s50                                   // 000000003C88: 807C32FF 00000500
	v_mfma_f32_16x16x32_fp8_fp8 v[136:139], a[24:25], v[192:193], v[136:139]// 000000003C90: D3F30088 0E238118
	v_mfma_f32_16x16x32_fp8_fp8 v[136:139], a[26:27], v[194:195], v[136:139]// 000000003C98: D3F30088 0E23851A
	buffer_load_dwordx4 a[68:71], v33, s[92:95], 0 offen offset:1024// 000000003CA0: E05C1400 80974421
	v_mfma_f32_16x16x32_fp8_fp8 v[136:139], a[28:29], v[196:197], v[136:139]// 000000003CA8: D3F30088 0E23891C
	v_mfma_f32_16x16x32_fp8_fp8 v[136:139], a[30:31], v[198:199], v[136:139]// 000000003CB0: D3F30088 0E238D1E
	buffer_load_dword v29, s[20:23], 0 offen lds               // 000000003CB8: E0511000 8005001D
	s_add_u32 m0, 0x600, s50                                   // 000000003CC0: 807C32FF 00000600
	v_mfma_f32_16x16x32_fp8_fp8 v[140:143], a[16:17], v[200:201], v[140:143]// 000000003CC8: D3F3008C 0E339110
	v_mfma_f32_16x16x32_fp8_fp8 v[140:143], a[18:19], v[202:203], v[140:143]// 000000003CD0: D3F3008C 0E339512
	buffer_load_dwordx4 a[72:75], v33, s[92:95], 0 offen offset:2048// 000000003CD8: E05C1800 80974821
	v_mfma_f32_16x16x32_fp8_fp8 v[140:143], a[20:21], v[204:205], v[140:143]// 000000003CE0: D3F3008C 0E339914
	v_mfma_f32_16x16x32_fp8_fp8 v[140:143], a[22:23], v[206:207], v[140:143]// 000000003CE8: D3F3008C 0E339D16
	buffer_load_dword v30, s[20:23], 0 offen lds               // 000000003CF0: E0511000 8005001E
	s_add_u32 m0, 0x700, s50                                   // 000000003CF8: 807C32FF 00000700
	v_mfma_f32_16x16x32_fp8_fp8 v[140:143], a[24:25], v[208:209], v[140:143]// 000000003D00: D3F3008C 0E33A118
	v_mfma_f32_16x16x32_fp8_fp8 v[140:143], a[26:27], v[210:211], v[140:143]// 000000003D08: D3F3008C 0E33A51A
	buffer_load_dwordx4 a[76:79], v33, s[92:95], 0 offen offset:3072// 000000003D10: E05C1C00 80974C21
	v_mfma_f32_16x16x32_fp8_fp8 v[140:143], a[28:29], v[212:213], v[140:143]// 000000003D18: D3F3008C 0E33A91C
	v_mfma_f32_16x16x32_fp8_fp8 v[140:143], a[30:31], v[214:215], v[140:143]// 000000003D20: D3F3008C 0E33AD1E
	buffer_load_dword v31, s[20:23], 0 offen lds               // 000000003D28: E0511000 8005001F
	s_add_u32 m0, 0, s51                                       // 000000003D30: 807C3380
	s_waitcnt vmcnt(16)                                        // 000000003D34: BF8C4F70
	v_mfma_f32_16x16x32_fp8_fp8 v[144:147], a[32:33], v[184:185], v[144:147]// 000000003D38: D3F30090 0E437120
	v_mfma_f32_16x16x32_fp8_fp8 v[144:147], a[34:35], v[186:187], v[144:147]// 000000003D40: D3F30090 0E437522
	buffer_load_dwordx4 a[80:83], v34, s[92:95], 0 offen       // 000000003D48: E05C1000 80975022
	v_mfma_f32_16x16x32_fp8_fp8 v[144:147], a[36:37], v[188:189], v[144:147]// 000000003D50: D3F30090 0E437924
	v_mfma_f32_16x16x32_fp8_fp8 v[144:147], a[38:39], v[190:191], v[144:147]// 000000003D58: D3F30090 0E437D26
	v_mfma_f32_16x16x32_fp8_fp8 v[144:147], a[40:41], v[192:193], v[144:147]// 000000003D60: D3F30090 0E438128
	v_mfma_f32_16x16x32_fp8_fp8 v[144:147], a[42:43], v[194:195], v[144:147]// 000000003D68: D3F30090 0E43852A
	buffer_load_dwordx4 a[84:87], v34, s[92:95], 0 offen offset:1024// 000000003D70: E05C1400 80975422
	v_mfma_f32_16x16x32_fp8_fp8 v[144:147], a[44:45], v[196:197], v[144:147]// 000000003D78: D3F30090 0E43892C
	v_mfma_f32_16x16x32_fp8_fp8 v[144:147], a[46:47], v[198:199], v[144:147]// 000000003D80: D3F30090 0E438D2E
	v_mfma_f32_16x16x32_fp8_fp8 v[148:151], a[32:33], v[200:201], v[148:151]// 000000003D88: D3F30094 0E539120
	v_mfma_f32_16x16x32_fp8_fp8 v[148:151], a[34:35], v[202:203], v[148:151]// 000000003D90: D3F30094 0E539522
	buffer_load_dwordx4 a[88:91], v34, s[92:95], 0 offen offset:2048// 000000003D98: E05C1800 80975822
	v_mfma_f32_16x16x32_fp8_fp8 v[148:151], a[36:37], v[204:205], v[148:151]// 000000003DA0: D3F30094 0E539924
	v_mfma_f32_16x16x32_fp8_fp8 v[148:151], a[38:39], v[206:207], v[148:151]// 000000003DA8: D3F30094 0E539D26
	v_mfma_f32_16x16x32_fp8_fp8 v[148:151], a[40:41], v[208:209], v[148:151]// 000000003DB0: D3F30094 0E53A128
	v_mfma_f32_16x16x32_fp8_fp8 v[148:151], a[42:43], v[210:211], v[148:151]// 000000003DB8: D3F30094 0E53A52A
	buffer_load_dwordx4 a[92:95], v34, s[92:95], 0 offen offset:3072// 000000003DC0: E05C1C00 80975C22
	v_mfma_f32_16x16x32_fp8_fp8 v[148:151], a[44:45], v[212:213], v[148:151]// 000000003DC8: D3F30094 0E53A92C
	v_mfma_f32_16x16x32_fp8_fp8 v[148:151], a[46:47], v[214:215], v[148:151]// 000000003DD0: D3F30094 0E53AD2E
	s_waitcnt vmcnt(4)                                         // 000000003DD8: BF8C0F74
	s_barrier                                                  // 000000003DDC: BF8A0000
	v_mfma_f32_16x16x32_fp8_fp8 v[64:67], a[48:49], v[184:185], v[64:67]// 000000003DE0: D3F30040 0D037130
	v_mfma_f32_16x16x32_fp8_fp8 v[64:67], a[50:51], v[186:187], v[64:67]// 000000003DE8: D3F30040 0D037532
	buffer_load_dwordx4 a[0:3], v32, s[24:27], 0 offen         // 000000003DF0: E05C1000 80860020
	v_mfma_f32_16x16x32_fp8_fp8 v[64:67], a[52:53], v[188:189], v[64:67]// 000000003DF8: D3F30040 0D037934
	v_mfma_f32_16x16x32_fp8_fp8 v[64:67], a[54:55], v[190:191], v[64:67]// 000000003E00: D3F30040 0D037D36
	v_mfma_f32_16x16x32_fp8_fp8 v[64:67], a[56:57], v[192:193], v[64:67]// 000000003E08: D3F30040 0D038138
	v_mfma_f32_16x16x32_fp8_fp8 v[64:67], a[58:59], v[194:195], v[64:67]// 000000003E10: D3F30040 0D03853A
	buffer_load_dwordx4 a[4:7], v32, s[24:27], 0 offen offset:1024// 000000003E18: E05C1400 80860420
	v_mfma_f32_16x16x32_fp8_fp8 v[64:67], a[60:61], v[196:197], v[64:67]// 000000003E20: D3F30040 0D03893C
	v_mfma_f32_16x16x32_fp8_fp8 v[64:67], a[62:63], v[198:199], v[64:67]// 000000003E28: D3F30040 0D038D3E
	v_mfma_f32_16x16x32_fp8_fp8 v[68:71], a[48:49], v[200:201], v[68:71]// 000000003E30: D3F30044 0D139130
	v_mfma_f32_16x16x32_fp8_fp8 v[68:71], a[50:51], v[202:203], v[68:71]// 000000003E38: D3F30044 0D139532
	buffer_load_dwordx4 a[8:11], v32, s[24:27], 0 offen offset:2048// 000000003E40: E05C1800 80860820
	v_mfma_f32_16x16x32_fp8_fp8 v[68:71], a[52:53], v[204:205], v[68:71]// 000000003E48: D3F30044 0D139934
	v_mfma_f32_16x16x32_fp8_fp8 v[68:71], a[54:55], v[206:207], v[68:71]// 000000003E50: D3F30044 0D139D36
	v_mfma_f32_16x16x32_fp8_fp8 v[68:71], a[56:57], v[208:209], v[68:71]// 000000003E58: D3F30044 0D13A138
	v_mfma_f32_16x16x32_fp8_fp8 v[68:71], a[58:59], v[210:211], v[68:71]// 000000003E60: D3F30044 0D13A53A
	buffer_load_dwordx4 a[12:15], v32, s[24:27], 0 offen offset:3072// 000000003E68: E05C1C00 80860C20
	v_mfma_f32_16x16x32_fp8_fp8 v[68:71], a[60:61], v[212:213], v[68:71]// 000000003E70: D3F30044 0D13A93C
	v_mfma_f32_16x16x32_fp8_fp8 v[68:71], a[62:63], v[214:215], v[68:71]// 000000003E78: D3F30044 0D13AD3E
	v_mfma_f32_16x16x32_fp8_fp8 v[72:75], a[64:65], v[184:185], v[72:75]// 000000003E80: D3F30048 0D237140
	v_mfma_f32_16x16x32_fp8_fp8 v[72:75], a[66:67], v[186:187], v[72:75]// 000000003E88: D3F30048 0D237542
	buffer_load_dwordx4 a[16:19], v33, s[24:27], 0 offen       // 000000003E90: E05C1000 80861021
	v_mfma_f32_16x16x32_fp8_fp8 v[72:75], a[68:69], v[188:189], v[72:75]// 000000003E98: D3F30048 0D237944
	v_mfma_f32_16x16x32_fp8_fp8 v[72:75], a[70:71], v[190:191], v[72:75]// 000000003EA0: D3F30048 0D237D46
	ds_read_b128 v[152:155], v2                                // 000000003EA8: D9FE0000 98000002
	v_mfma_f32_16x16x32_fp8_fp8 v[72:75], a[72:73], v[192:193], v[72:75]// 000000003EB0: D3F30048 0D238148
	v_mfma_f32_16x16x32_fp8_fp8 v[72:75], a[74:75], v[194:195], v[72:75]// 000000003EB8: D3F30048 0D23854A
	buffer_load_dwordx4 a[20:23], v33, s[24:27], 0 offen offset:1024// 000000003EC0: E05C1400 80861421
	v_mfma_f32_16x16x32_fp8_fp8 v[72:75], a[76:77], v[196:197], v[72:75]// 000000003EC8: D3F30048 0D23894C
	v_mfma_f32_16x16x32_fp8_fp8 v[72:75], a[78:79], v[198:199], v[72:75]// 000000003ED0: D3F30048 0D238D4E
	ds_read_b128 v[156:159], v2 offset:64                      // 000000003ED8: D9FE0040 9C000002
	v_mfma_f32_16x16x32_fp8_fp8 v[76:79], a[64:65], v[200:201], v[76:79]// 000000003EE0: D3F3004C 0D339140
	v_mfma_f32_16x16x32_fp8_fp8 v[76:79], a[66:67], v[202:203], v[76:79]// 000000003EE8: D3F3004C 0D339542
	buffer_load_dwordx4 a[24:27], v33, s[24:27], 0 offen offset:2048// 000000003EF0: E05C1800 80861821
	v_mfma_f32_16x16x32_fp8_fp8 v[76:79], a[68:69], v[204:205], v[76:79]// 000000003EF8: D3F3004C 0D339944
	v_mfma_f32_16x16x32_fp8_fp8 v[76:79], a[70:71], v[206:207], v[76:79]// 000000003F00: D3F3004C 0D339D46
	ds_read_b128 v[160:163], v2 offset:128                     // 000000003F08: D9FE0080 A0000002
	v_mfma_f32_16x16x32_fp8_fp8 v[76:79], a[72:73], v[208:209], v[76:79]// 000000003F10: D3F3004C 0D33A148
	v_mfma_f32_16x16x32_fp8_fp8 v[76:79], a[74:75], v[210:211], v[76:79]// 000000003F18: D3F3004C 0D33A54A
	buffer_load_dwordx4 a[28:31], v33, s[24:27], 0 offen offset:3072// 000000003F20: E05C1C00 80861C21
	v_mfma_f32_16x16x32_fp8_fp8 v[76:79], a[76:77], v[212:213], v[76:79]// 000000003F28: D3F3004C 0D33A94C
	v_mfma_f32_16x16x32_fp8_fp8 v[76:79], a[78:79], v[214:215], v[76:79]// 000000003F30: D3F3004C 0D33AD4E
	ds_read_b128 v[164:167], v2 offset:192                     // 000000003F38: D9FE00C0 A4000002
	s_waitcnt vmcnt(8)                                         // 000000003F40: BF8C0F78
	v_mfma_f32_16x16x32_fp8_fp8 v[80:83], a[80:81], v[184:185], v[80:83]// 000000003F44: D3F30050 0D437150
	v_mfma_f32_16x16x32_fp8_fp8 v[80:83], a[82:83], v[186:187], v[80:83]// 000000003F4C: D3F30050 0D437552
	buffer_load_dwordx4 a[32:35], v34, s[24:27], 0 offen       // 000000003F54: E05C1000 80862022
	v_mfma_f32_16x16x32_fp8_fp8 v[80:83], a[84:85], v[188:189], v[80:83]// 000000003F5C: D3F30050 0D437954
	v_mfma_f32_16x16x32_fp8_fp8 v[80:83], a[86:87], v[190:191], v[80:83]// 000000003F64: D3F30050 0D437D56
	ds_read_b128 v[168:171], v2 offset:1024                    // 000000003F6C: D9FE0400 A8000002
	v_mfma_f32_16x16x32_fp8_fp8 v[80:83], a[88:89], v[192:193], v[80:83]// 000000003F74: D3F30050 0D438158
	v_mfma_f32_16x16x32_fp8_fp8 v[80:83], a[90:91], v[194:195], v[80:83]// 000000003F7C: D3F30050 0D43855A
	buffer_load_dwordx4 a[36:39], v34, s[24:27], 0 offen offset:1024// 000000003F84: E05C1400 80862422
	v_mfma_f32_16x16x32_fp8_fp8 v[80:83], a[92:93], v[196:197], v[80:83]// 000000003F8C: D3F30050 0D43895C
	v_mfma_f32_16x16x32_fp8_fp8 v[80:83], a[94:95], v[198:199], v[80:83]// 000000003F94: D3F30050 0D438D5E
	ds_read_b128 v[172:175], v2 offset:1088                    // 000000003F9C: D9FE0440 AC000002
	v_mfma_f32_16x16x32_fp8_fp8 v[84:87], a[80:81], v[200:201], v[84:87]// 000000003FA4: D3F30054 0D539150
	v_mfma_f32_16x16x32_fp8_fp8 v[84:87], a[82:83], v[202:203], v[84:87]// 000000003FAC: D3F30054 0D539552
	buffer_load_dwordx4 a[40:43], v34, s[24:27], 0 offen offset:2048// 000000003FB4: E05C1800 80862822
	v_mfma_f32_16x16x32_fp8_fp8 v[84:87], a[84:85], v[204:205], v[84:87]// 000000003FBC: D3F30054 0D539954
	v_mfma_f32_16x16x32_fp8_fp8 v[84:87], a[86:87], v[206:207], v[84:87]// 000000003FC4: D3F30054 0D539D56
	ds_read_b128 v[176:179], v2 offset:1152                    // 000000003FCC: D9FE0480 B0000002
	v_mfma_f32_16x16x32_fp8_fp8 v[84:87], a[88:89], v[208:209], v[84:87]// 000000003FD4: D3F30054 0D53A158
	v_mfma_f32_16x16x32_fp8_fp8 v[84:87], a[90:91], v[210:211], v[84:87]// 000000003FDC: D3F30054 0D53A55A
	buffer_load_dwordx4 a[44:47], v34, s[24:27], 0 offen offset:3072// 000000003FE4: E05C1C00 80862C22
	v_mfma_f32_16x16x32_fp8_fp8 v[84:87], a[92:93], v[212:213], v[84:87]// 000000003FEC: D3F30054 0D53A95C
	v_mfma_f32_16x16x32_fp8_fp8 v[84:87], a[94:95], v[214:215], v[84:87]// 000000003FF4: D3F30054 0D53AD5E
	ds_read_b128 v[180:183], v2 offset:1216                    // 000000003FFC: D9FE04C0 B4000002
	s_add_u32 s60, 0x200, s80                                  // 000000004004: 803C50FF 00000200
	s_cmp_lt_u32 s60, s81                                      // 00000000400C: BF0A513C
	s_cselect_b32 s57, s57, 0                                  // 000000004010: 85398039
	s_add_u32 s60, 0x200, s80                                  // 000000004014: 803C50FF 00000200
	s_cmp_lt_u32 s60, s81                                      // 00000000401C: BF0A513C
	s_cselect_b32 s58, s58, 0                                  // 000000004020: 853A803A
	s_add_u32 s20, s57, s20                                    // 000000004024: 80141439
	s_addc_u32 s21, 0, s21                                     // 000000004028: 82151580
	s_add_u32 s24, s58, s24                                    // 00000000402C: 8018183A
	s_addc_u32 s25, 0, s25                                     // 000000004030: 82191980
	s_add_u32 s92, s90, s92                                    // 000000004034: 805C5C5A
	s_addc_u32 s93, 0, s93                                     // 000000004038: 825D5D80
	s_addk_i32 s80, 0x100                                      // 00000000403C: B7500100
	s_cmp_lt_i32 s80, s81                                      // 000000004040: BF045150
	s_cbranch_scc0 label_0493                                  // 000000004044: BF840001
	s_branch label_0226                                        // 000000004048: BF82FD93

000000000000404c <label_0493>:
	s_mov_b32 s20, 0                                           // 00000000404C: BE940080
	s_cmp_lt_u32 s89, s66                                      // 000000004050: BF0A4259
	s_cselect_b32 s60, 0, 1                                    // 000000004054: 853C8180
	s_lshl1_add_u32 s20, s20, s60                              // 000000004058: 97143C14
	s_cmp_lt_u32 s88, s66                                      // 00000000405C: BF0A4258
	s_cselect_b32 s60, 0, 1                                    // 000000004060: 853C8180
	s_lshl1_add_u32 s20, s20, s60                              // 000000004064: 97143C14
	s_cmp_lt_u32 s87, s66                                      // 000000004068: BF0A4257
	s_cselect_b32 s60, 0, 1                                    // 00000000406C: 853C8180
	s_lshl1_add_u32 s20, s20, s60                              // 000000004070: 97143C14
	s_cmp_lt_u32 s86, s66                                      // 000000004074: BF0A4256
	s_cselect_b32 s60, 0, 1                                    // 000000004078: 853C8180
	s_lshl1_add_u32 s20, s20, s60                              // 00000000407C: 97143C14
	s_cmp_lt_u32 s85, s66                                      // 000000004080: BF0A4255
	s_cselect_b32 s60, 0, 1                                    // 000000004084: 853C8180
	s_lshl1_add_u32 s20, s20, s60                              // 000000004088: 97143C14
	s_cmp_lt_u32 s84, s66                                      // 00000000408C: BF0A4254
	s_cselect_b32 s60, 0, 1                                    // 000000004090: 853C8180
	s_lshl1_add_u32 s20, s20, s60                              // 000000004094: 97143C14
	s_cmp_lt_u32 s83, s66                                      // 000000004098: BF0A4253
	s_cselect_b32 s60, 0, 1                                    // 00000000409C: 853C8180
	s_lshl1_add_u32 s20, s20, s60                              // 0000000040A0: 97143C14
	s_cmp_lt_u32 s82, s66                                      // 0000000040A4: BF0A4252
	s_cselect_b32 s60, 0, 1                                    // 0000000040A8: 853C8180
	s_lshl1_add_u32 s20, s20, s60                              // 0000000040AC: 97143C14
	v_mul_f32_e32 v128, v13, v128                              // 0000000040B0: 0B01010D
	v_mul_f32_e32 v129, v13, v129                              // 0000000040B4: 0B03030D
	v_mul_f32_e32 v130, v13, v130                              // 0000000040B8: 0B05050D
	v_mul_f32_e32 v131, v13, v131                              // 0000000040BC: 0B07070D
	v_mul_f32_dpp v128, v15, v128 row_newbcast:0 row_mask:0xf bank_mask:0xf// 0000000040C0: 0B0100FA FF01500F
	v_mul_f32_dpp v129, v15, v129 row_newbcast:1 row_mask:0xf bank_mask:0xf// 0000000040C8: 0B0302FA FF01510F
	v_mul_f32_dpp v130, v15, v130 row_newbcast:2 row_mask:0xf bank_mask:0xf// 0000000040D0: 0B0504FA FF01520F
	v_mul_f32_dpp v131, v15, v131 row_newbcast:3 row_mask:0xf bank_mask:0xf// 0000000040D8: 0B0706FA FF01530F
	v_mul_f32_e32 v132, v14, v132                              // 0000000040E0: 0B09090E
	v_mul_f32_e32 v133, v14, v133                              // 0000000040E4: 0B0B0B0E
	v_mul_f32_e32 v134, v14, v134                              // 0000000040E8: 0B0D0D0E
	v_mul_f32_e32 v135, v14, v135                              // 0000000040EC: 0B0F0F0E
	v_mul_f32_dpp v132, v15, v132 row_newbcast:0 row_mask:0xf bank_mask:0xf// 0000000040F0: 0B0908FA FF01500F
	v_mul_f32_dpp v133, v15, v133 row_newbcast:1 row_mask:0xf bank_mask:0xf// 0000000040F8: 0B0B0AFA FF01510F
	v_mul_f32_dpp v134, v15, v134 row_newbcast:2 row_mask:0xf bank_mask:0xf// 000000004100: 0B0D0CFA FF01520F
	v_mul_f32_dpp v135, v15, v135 row_newbcast:3 row_mask:0xf bank_mask:0xf// 000000004108: 0B0F0EFA FF01530F
	v_mul_f32_e32 v136, v13, v136                              // 000000004110: 0B11110D
	v_mul_f32_e32 v137, v13, v137                              // 000000004114: 0B13130D
	v_mul_f32_e32 v138, v13, v138                              // 000000004118: 0B15150D
	v_mul_f32_e32 v139, v13, v139                              // 00000000411C: 0B17170D
	v_mul_f32_dpp v136, v15, v136 row_newbcast:4 row_mask:0xf bank_mask:0xf// 000000004120: 0B1110FA FF01540F
	v_mul_f32_dpp v137, v15, v137 row_newbcast:5 row_mask:0xf bank_mask:0xf// 000000004128: 0B1312FA FF01550F
	v_mul_f32_dpp v138, v15, v138 row_newbcast:6 row_mask:0xf bank_mask:0xf// 000000004130: 0B1514FA FF01560F
	v_mul_f32_dpp v139, v15, v139 row_newbcast:7 row_mask:0xf bank_mask:0xf// 000000004138: 0B1716FA FF01570F
	v_mul_f32_e32 v140, v14, v140                              // 000000004140: 0B19190E
	v_mul_f32_e32 v141, v14, v141                              // 000000004144: 0B1B1B0E
	v_mul_f32_e32 v142, v14, v142                              // 000000004148: 0B1D1D0E
	v_mul_f32_e32 v143, v14, v143                              // 00000000414C: 0B1F1F0E
	v_mul_f32_dpp v140, v15, v140 row_newbcast:4 row_mask:0xf bank_mask:0xf// 000000004150: 0B1918FA FF01540F
	v_mul_f32_dpp v141, v15, v141 row_newbcast:5 row_mask:0xf bank_mask:0xf// 000000004158: 0B1B1AFA FF01550F
	v_mul_f32_dpp v142, v15, v142 row_newbcast:6 row_mask:0xf bank_mask:0xf// 000000004160: 0B1D1CFA FF01560F
	v_mul_f32_dpp v143, v15, v143 row_newbcast:7 row_mask:0xf bank_mask:0xf// 000000004168: 0B1F1EFA FF01570F
	v_mul_f32_e32 v144, v13, v144                              // 000000004170: 0B21210D
	v_mul_f32_e32 v145, v13, v145                              // 000000004174: 0B23230D
	v_mul_f32_e32 v146, v13, v146                              // 000000004178: 0B25250D
	v_mul_f32_e32 v147, v13, v147                              // 00000000417C: 0B27270D
	v_mul_f32_dpp v144, v15, v144 row_newbcast:8 row_mask:0xf bank_mask:0xf// 000000004180: 0B2120FA FF01580F
	v_mul_f32_dpp v145, v15, v145 row_newbcast:9 row_mask:0xf bank_mask:0xf// 000000004188: 0B2322FA FF01590F
	v_mul_f32_dpp v146, v15, v146 row_newbcast:10 row_mask:0xf bank_mask:0xf// 000000004190: 0B2524FA FF015A0F
	v_mul_f32_dpp v147, v15, v147 row_newbcast:11 row_mask:0xf bank_mask:0xf// 000000004198: 0B2726FA FF015B0F
	v_mul_f32_e32 v148, v14, v148                              // 0000000041A0: 0B29290E
	v_mul_f32_e32 v149, v14, v149                              // 0000000041A4: 0B2B2B0E
	v_mul_f32_e32 v150, v14, v150                              // 0000000041A8: 0B2D2D0E
	v_mul_f32_e32 v151, v14, v151                              // 0000000041AC: 0B2F2F0E
	v_mul_f32_dpp v148, v15, v148 row_newbcast:8 row_mask:0xf bank_mask:0xf// 0000000041B0: 0B2928FA FF01580F
	v_mul_f32_dpp v149, v15, v149 row_newbcast:9 row_mask:0xf bank_mask:0xf// 0000000041B8: 0B2B2AFA FF01590F
	v_mul_f32_dpp v150, v15, v150 row_newbcast:10 row_mask:0xf bank_mask:0xf// 0000000041C0: 0B2D2CFA FF015A0F
	v_mul_f32_dpp v151, v15, v151 row_newbcast:11 row_mask:0xf bank_mask:0xf// 0000000041C8: 0B2F2EFA FF015B0F
	v_mul_f32_e32 v64, v13, v64                                // 0000000041D0: 0A80810D
	v_mul_f32_e32 v65, v13, v65                                // 0000000041D4: 0A82830D
	v_mul_f32_e32 v66, v13, v66                                // 0000000041D8: 0A84850D
	v_mul_f32_e32 v67, v13, v67                                // 0000000041DC: 0A86870D
	v_mul_f32_dpp v64, v43, v64 row_newbcast:0 row_mask:0xf bank_mask:0xf// 0000000041E0: 0A8080FA FF01502B
	v_mul_f32_dpp v65, v43, v65 row_newbcast:1 row_mask:0xf bank_mask:0xf// 0000000041E8: 0A8282FA FF01512B
	v_mul_f32_dpp v66, v43, v66 row_newbcast:2 row_mask:0xf bank_mask:0xf// 0000000041F0: 0A8484FA FF01522B
	v_mul_f32_dpp v67, v43, v67 row_newbcast:3 row_mask:0xf bank_mask:0xf// 0000000041F8: 0A8686FA FF01532B
	v_mul_f32_e32 v68, v14, v68                                // 000000004200: 0A88890E
	v_mul_f32_e32 v69, v14, v69                                // 000000004204: 0A8A8B0E
	v_mul_f32_e32 v70, v14, v70                                // 000000004208: 0A8C8D0E
	v_mul_f32_e32 v71, v14, v71                                // 00000000420C: 0A8E8F0E
	v_mul_f32_dpp v68, v43, v68 row_newbcast:0 row_mask:0xf bank_mask:0xf// 000000004210: 0A8888FA FF01502B
	v_mul_f32_dpp v69, v43, v69 row_newbcast:1 row_mask:0xf bank_mask:0xf// 000000004218: 0A8A8AFA FF01512B
	v_mul_f32_dpp v70, v43, v70 row_newbcast:2 row_mask:0xf bank_mask:0xf// 000000004220: 0A8C8CFA FF01522B
	v_mul_f32_dpp v71, v43, v71 row_newbcast:3 row_mask:0xf bank_mask:0xf// 000000004228: 0A8E8EFA FF01532B
	v_mul_f32_e32 v72, v13, v72                                // 000000004230: 0A90910D
	v_mul_f32_e32 v73, v13, v73                                // 000000004234: 0A92930D
	v_mul_f32_e32 v74, v13, v74                                // 000000004238: 0A94950D
	v_mul_f32_e32 v75, v13, v75                                // 00000000423C: 0A96970D
	v_mul_f32_dpp v72, v43, v72 row_newbcast:4 row_mask:0xf bank_mask:0xf// 000000004240: 0A9090FA FF01542B
	v_mul_f32_dpp v73, v43, v73 row_newbcast:5 row_mask:0xf bank_mask:0xf// 000000004248: 0A9292FA FF01552B
	v_mul_f32_dpp v74, v43, v74 row_newbcast:6 row_mask:0xf bank_mask:0xf// 000000004250: 0A9494FA FF01562B
	v_mul_f32_dpp v75, v43, v75 row_newbcast:7 row_mask:0xf bank_mask:0xf// 000000004258: 0A9696FA FF01572B
	v_mul_f32_e32 v76, v14, v76                                // 000000004260: 0A98990E
	v_mul_f32_e32 v77, v14, v77                                // 000000004264: 0A9A9B0E
	v_mul_f32_e32 v78, v14, v78                                // 000000004268: 0A9C9D0E
	v_mul_f32_e32 v79, v14, v79                                // 00000000426C: 0A9E9F0E
	v_mul_f32_dpp v76, v43, v76 row_newbcast:4 row_mask:0xf bank_mask:0xf// 000000004270: 0A9898FA FF01542B
	v_mul_f32_dpp v77, v43, v77 row_newbcast:5 row_mask:0xf bank_mask:0xf// 000000004278: 0A9A9AFA FF01552B
	v_mul_f32_dpp v78, v43, v78 row_newbcast:6 row_mask:0xf bank_mask:0xf// 000000004280: 0A9C9CFA FF01562B
	v_mul_f32_dpp v79, v43, v79 row_newbcast:7 row_mask:0xf bank_mask:0xf// 000000004288: 0A9E9EFA FF01572B
	v_mul_f32_e32 v80, v13, v80                                // 000000004290: 0AA0A10D
	v_mul_f32_e32 v81, v13, v81                                // 000000004294: 0AA2A30D
	v_mul_f32_e32 v82, v13, v82                                // 000000004298: 0AA4A50D
	v_mul_f32_e32 v83, v13, v83                                // 00000000429C: 0AA6A70D
	v_mul_f32_dpp v80, v43, v80 row_newbcast:8 row_mask:0xf bank_mask:0xf// 0000000042A0: 0AA0A0FA FF01582B
	v_mul_f32_dpp v81, v43, v81 row_newbcast:9 row_mask:0xf bank_mask:0xf// 0000000042A8: 0AA2A2FA FF01592B
	v_mul_f32_dpp v82, v43, v82 row_newbcast:10 row_mask:0xf bank_mask:0xf// 0000000042B0: 0AA4A4FA FF015A2B
	v_mul_f32_dpp v83, v43, v83 row_newbcast:11 row_mask:0xf bank_mask:0xf// 0000000042B8: 0AA6A6FA FF015B2B
	v_mul_f32_e32 v84, v14, v84                                // 0000000042C0: 0AA8A90E
	v_mul_f32_e32 v85, v14, v85                                // 0000000042C4: 0AAAAB0E
	v_mul_f32_e32 v86, v14, v86                                // 0000000042C8: 0AACAD0E
	v_mul_f32_e32 v87, v14, v87                                // 0000000042CC: 0AAEAF0E
	v_mul_f32_dpp v84, v43, v84 row_newbcast:8 row_mask:0xf bank_mask:0xf// 0000000042D0: 0AA8A8FA FF01582B
	v_mul_f32_dpp v85, v43, v85 row_newbcast:9 row_mask:0xf bank_mask:0xf// 0000000042D8: 0AAAAAFA FF01592B
	v_mul_f32_dpp v86, v43, v86 row_newbcast:10 row_mask:0xf bank_mask:0xf// 0000000042E0: 0AACACFA FF015A2B
	v_mul_f32_dpp v87, v43, v87 row_newbcast:11 row_mask:0xf bank_mask:0xf// 0000000042E8: 0AAEAEFA FF015B2B
	s_waitcnt vmcnt(8)                                         // 0000000042F0: BF8C0F78
	buffer_load_dwordx4 a[0:3], v35, s[12:15], 0 offen         // 0000000042F4: E05C1000 80830023
	v_mul_f32_e64 v44, -v128, s6                               // 0000000042FC: D105002C 20000D80
	v_mul_f32_e64 v45, -v129, s6                               // 000000004304: D105002D 20000D81
	v_mul_f32_e64 v46, -v130, s6                               // 00000000430C: D105002E 20000D82
	v_mul_f32_e64 v47, -v131, s6                               // 000000004314: D105002F 20000D83
	v_exp_f32_e32 v44, v44                                     // 00000000431C: 7E58412C
	v_exp_f32_e32 v45, v45                                     // 000000004320: 7E5A412D
	v_exp_f32_e32 v46, v46                                     // 000000004324: 7E5C412E
	v_exp_f32_e32 v47, v47                                     // 000000004328: 7E5E412F
	buffer_load_dwordx4 a[4:7], v36, s[12:15], 0 offen         // 00000000432C: E05C1000 80830424
	v_add_f32_e64 v44, v44, 1.0                                // 000000004334: D101002C 0001E52C
	v_add_f32_e64 v45, v45, 1.0                                // 00000000433C: D101002D 0001E52D
	v_add_f32_e64 v46, v46, 1.0                                // 000000004344: D101002E 0001E52E
	v_add_f32_e64 v47, v47, 1.0                                // 00000000434C: D101002F 0001E52F
	v_rcp_f32_e32 v44, v44                                     // 000000004354: 7E58452C
	v_rcp_f32_e32 v45, v45                                     // 000000004358: 7E5A452D
	v_rcp_f32_e32 v46, v46                                     // 00000000435C: 7E5C452E
	v_rcp_f32_e32 v47, v47                                     // 000000004360: 7E5E452F
	v_mul_f32_e32 v128, v128, v44                              // 000000004364: 0B005980
	v_mul_f32_e32 v129, v129, v45                              // 000000004368: 0B025B81
	v_mul_f32_e32 v130, v130, v46                              // 00000000436C: 0B045D82
	v_mul_f32_e32 v131, v131, v47                              // 000000004370: 0B065F83
	v_mul_f32_e32 v128, v128, v64                              // 000000004374: 0B008180
	v_mul_f32_e32 v129, v129, v65                              // 000000004378: 0B028381
	v_mul_f32_e32 v130, v130, v66                              // 00000000437C: 0B048582
	v_mul_f32_e32 v131, v131, v67                              // 000000004380: 0B068783
	buffer_load_dwordx4 a[8:11], v37, s[12:15], 0 offen        // 000000004384: E05C1000 80830825
	v_mul_f32_e64 v44, -v132, s6                               // 00000000438C: D105002C 20000D84
	v_mul_f32_e64 v45, -v133, s6                               // 000000004394: D105002D 20000D85
	v_mul_f32_e64 v46, -v134, s6                               // 00000000439C: D105002E 20000D86
	v_mul_f32_e64 v47, -v135, s6                               // 0000000043A4: D105002F 20000D87
	v_exp_f32_e32 v44, v44                                     // 0000000043AC: 7E58412C
	v_exp_f32_e32 v45, v45                                     // 0000000043B0: 7E5A412D
	v_exp_f32_e32 v46, v46                                     // 0000000043B4: 7E5C412E
	v_exp_f32_e32 v47, v47                                     // 0000000043B8: 7E5E412F
	buffer_load_dwordx4 a[12:15], v38, s[12:15], 0 offen       // 0000000043BC: E05C1000 80830C26
	s_add_u32 s12, s78, s12                                    // 0000000043C4: 800C0C4E
	s_addc_u32 s13, 0, s13                                     // 0000000043C8: 820D0D80
	v_add_f32_e64 v44, v44, 1.0                                // 0000000043CC: D101002C 0001E52C
	v_add_f32_e64 v45, v45, 1.0                                // 0000000043D4: D101002D 0001E52D
	v_add_f32_e64 v46, v46, 1.0                                // 0000000043DC: D101002E 0001E52E
	v_add_f32_e64 v47, v47, 1.0                                // 0000000043E4: D101002F 0001E52F
	v_rcp_f32_e32 v44, v44                                     // 0000000043EC: 7E58452C
	v_rcp_f32_e32 v45, v45                                     // 0000000043F0: 7E5A452D
	v_rcp_f32_e32 v46, v46                                     // 0000000043F4: 7E5C452E
	v_rcp_f32_e32 v47, v47                                     // 0000000043F8: 7E5E452F
	v_mul_f32_e32 v132, v132, v44                              // 0000000043FC: 0B085984
	v_mul_f32_e32 v133, v133, v45                              // 000000004400: 0B0A5B85
	v_mul_f32_e32 v134, v134, v46                              // 000000004404: 0B0C5D86
	v_mul_f32_e32 v135, v135, v47                              // 000000004408: 0B0E5F87
	v_mul_f32_e32 v132, v132, v68                              // 00000000440C: 0B088984
	v_mul_f32_e32 v133, v133, v69                              // 000000004410: 0B0A8B85
	v_mul_f32_e32 v134, v134, v70                              // 000000004414: 0B0C8D86
	v_mul_f32_e32 v135, v135, v71                              // 000000004418: 0B0E8F87
	s_waitcnt vmcnt(8)                                         // 00000000441C: BF8C0F78
	buffer_load_dwordx4 a[16:19], v35, s[12:15], 0 offen       // 000000004420: E05C1000 80831023
	v_mul_f32_e64 v44, -v136, s6                               // 000000004428: D105002C 20000D88
	v_mul_f32_e64 v45, -v137, s6                               // 000000004430: D105002D 20000D89
	v_mul_f32_e64 v46, -v138, s6                               // 000000004438: D105002E 20000D8A
	v_mul_f32_e64 v47, -v139, s6                               // 000000004440: D105002F 20000D8B
	v_exp_f32_e32 v44, v44                                     // 000000004448: 7E58412C
	v_exp_f32_e32 v45, v45                                     // 00000000444C: 7E5A412D
	v_exp_f32_e32 v46, v46                                     // 000000004450: 7E5C412E
	v_exp_f32_e32 v47, v47                                     // 000000004454: 7E5E412F
	buffer_load_dwordx4 a[20:23], v36, s[12:15], 0 offen       // 000000004458: E05C1000 80831424
	v_add_f32_e64 v44, v44, 1.0                                // 000000004460: D101002C 0001E52C
	v_add_f32_e64 v45, v45, 1.0                                // 000000004468: D101002D 0001E52D
	v_add_f32_e64 v46, v46, 1.0                                // 000000004470: D101002E 0001E52E
	v_add_f32_e64 v47, v47, 1.0                                // 000000004478: D101002F 0001E52F
	v_rcp_f32_e32 v44, v44                                     // 000000004480: 7E58452C
	v_rcp_f32_e32 v45, v45                                     // 000000004484: 7E5A452D
	v_rcp_f32_e32 v46, v46                                     // 000000004488: 7E5C452E
	v_rcp_f32_e32 v47, v47                                     // 00000000448C: 7E5E452F
	v_mul_f32_e32 v136, v136, v44                              // 000000004490: 0B105988
	v_mul_f32_e32 v137, v137, v45                              // 000000004494: 0B125B89
	v_mul_f32_e32 v138, v138, v46                              // 000000004498: 0B145D8A
	v_mul_f32_e32 v139, v139, v47                              // 00000000449C: 0B165F8B
	v_mul_f32_e32 v136, v136, v72                              // 0000000044A0: 0B109188
	v_mul_f32_e32 v137, v137, v73                              // 0000000044A4: 0B129389
	v_mul_f32_e32 v138, v138, v74                              // 0000000044A8: 0B14958A
	v_mul_f32_e32 v139, v139, v75                              // 0000000044AC: 0B16978B
	buffer_load_dwordx4 a[24:27], v37, s[12:15], 0 offen       // 0000000044B0: E05C1000 80831825
	v_mul_f32_e64 v44, -v140, s6                               // 0000000044B8: D105002C 20000D8C
	v_mul_f32_e64 v45, -v141, s6                               // 0000000044C0: D105002D 20000D8D
	v_mul_f32_e64 v46, -v142, s6                               // 0000000044C8: D105002E 20000D8E
	v_mul_f32_e64 v47, -v143, s6                               // 0000000044D0: D105002F 20000D8F
	v_exp_f32_e32 v44, v44                                     // 0000000044D8: 7E58412C
	v_exp_f32_e32 v45, v45                                     // 0000000044DC: 7E5A412D
	v_exp_f32_e32 v46, v46                                     // 0000000044E0: 7E5C412E
	v_exp_f32_e32 v47, v47                                     // 0000000044E4: 7E5E412F
	buffer_load_dwordx4 a[28:31], v38, s[12:15], 0 offen       // 0000000044E8: E05C1000 80831C26
	s_add_u32 s12, s78, s12                                    // 0000000044F0: 800C0C4E
	s_addc_u32 s13, 0, s13                                     // 0000000044F4: 820D0D80
	v_add_f32_e64 v44, v44, 1.0                                // 0000000044F8: D101002C 0001E52C
	v_add_f32_e64 v45, v45, 1.0                                // 000000004500: D101002D 0001E52D
	v_add_f32_e64 v46, v46, 1.0                                // 000000004508: D101002E 0001E52E
	v_add_f32_e64 v47, v47, 1.0                                // 000000004510: D101002F 0001E52F
	v_rcp_f32_e32 v44, v44                                     // 000000004518: 7E58452C
	v_rcp_f32_e32 v45, v45                                     // 00000000451C: 7E5A452D
	v_rcp_f32_e32 v46, v46                                     // 000000004520: 7E5C452E
	v_rcp_f32_e32 v47, v47                                     // 000000004524: 7E5E452F
	v_mul_f32_e32 v140, v140, v44                              // 000000004528: 0B18598C
	v_mul_f32_e32 v141, v141, v45                              // 00000000452C: 0B1A5B8D
	v_mul_f32_e32 v142, v142, v46                              // 000000004530: 0B1C5D8E
	v_mul_f32_e32 v143, v143, v47                              // 000000004534: 0B1E5F8F
	v_mul_f32_e32 v140, v140, v76                              // 000000004538: 0B18998C
	v_mul_f32_e32 v141, v141, v77                              // 00000000453C: 0B1A9B8D
	v_mul_f32_e32 v142, v142, v78                              // 000000004540: 0B1C9D8E
	v_mul_f32_e32 v143, v143, v79                              // 000000004544: 0B1E9F8F
	s_waitcnt vmcnt(8)                                         // 000000004548: BF8C0F78
	buffer_load_dwordx4 a[32:35], v35, s[12:15], 0 offen       // 00000000454C: E05C1000 80832023
	v_mul_f32_e64 v44, -v144, s6                               // 000000004554: D105002C 20000D90
	v_mul_f32_e64 v45, -v145, s6                               // 00000000455C: D105002D 20000D91
	v_mul_f32_e64 v46, -v146, s6                               // 000000004564: D105002E 20000D92
	v_mul_f32_e64 v47, -v147, s6                               // 00000000456C: D105002F 20000D93
	v_exp_f32_e32 v44, v44                                     // 000000004574: 7E58412C
	v_exp_f32_e32 v45, v45                                     // 000000004578: 7E5A412D
	v_exp_f32_e32 v46, v46                                     // 00000000457C: 7E5C412E
	v_exp_f32_e32 v47, v47                                     // 000000004580: 7E5E412F
	buffer_load_dwordx4 a[36:39], v36, s[12:15], 0 offen       // 000000004584: E05C1000 80832424
	v_add_f32_e64 v44, v44, 1.0                                // 00000000458C: D101002C 0001E52C
	v_add_f32_e64 v45, v45, 1.0                                // 000000004594: D101002D 0001E52D
	v_add_f32_e64 v46, v46, 1.0                                // 00000000459C: D101002E 0001E52E
	v_add_f32_e64 v47, v47, 1.0                                // 0000000045A4: D101002F 0001E52F
	v_rcp_f32_e32 v44, v44                                     // 0000000045AC: 7E58452C
	v_rcp_f32_e32 v45, v45                                     // 0000000045B0: 7E5A452D
	v_rcp_f32_e32 v46, v46                                     // 0000000045B4: 7E5C452E
	v_rcp_f32_e32 v47, v47                                     // 0000000045B8: 7E5E452F
	v_mul_f32_e32 v144, v144, v44                              // 0000000045BC: 0B205990
	v_mul_f32_e32 v145, v145, v45                              // 0000000045C0: 0B225B91
	v_mul_f32_e32 v146, v146, v46                              // 0000000045C4: 0B245D92
	v_mul_f32_e32 v147, v147, v47                              // 0000000045C8: 0B265F93
	v_mul_f32_e32 v144, v144, v80                              // 0000000045CC: 0B20A190
	v_mul_f32_e32 v145, v145, v81                              // 0000000045D0: 0B22A391
	v_mul_f32_e32 v146, v146, v82                              // 0000000045D4: 0B24A592
	v_mul_f32_e32 v147, v147, v83                              // 0000000045D8: 0B26A793
	buffer_load_dwordx4 a[40:43], v37, s[12:15], 0 offen       // 0000000045DC: E05C1000 80832825
	v_mul_f32_e64 v44, -v148, s6                               // 0000000045E4: D105002C 20000D94
	v_mul_f32_e64 v45, -v149, s6                               // 0000000045EC: D105002D 20000D95
	v_mul_f32_e64 v46, -v150, s6                               // 0000000045F4: D105002E 20000D96
	v_mul_f32_e64 v47, -v151, s6                               // 0000000045FC: D105002F 20000D97
	v_exp_f32_e32 v44, v44                                     // 000000004604: 7E58412C
	v_exp_f32_e32 v45, v45                                     // 000000004608: 7E5A412D
	v_exp_f32_e32 v46, v46                                     // 00000000460C: 7E5C412E
	v_exp_f32_e32 v47, v47                                     // 000000004610: 7E5E412F
	buffer_load_dwordx4 a[44:47], v38, s[12:15], 0 offen       // 000000004614: E05C1000 80832C26
	v_add_f32_e64 v44, v44, 1.0                                // 00000000461C: D101002C 0001E52C
	v_add_f32_e64 v45, v45, 1.0                                // 000000004624: D101002D 0001E52D
	v_add_f32_e64 v46, v46, 1.0                                // 00000000462C: D101002E 0001E52E
	v_add_f32_e64 v47, v47, 1.0                                // 000000004634: D101002F 0001E52F
	v_rcp_f32_e32 v44, v44                                     // 00000000463C: 7E58452C
	v_rcp_f32_e32 v45, v45                                     // 000000004640: 7E5A452D
	v_rcp_f32_e32 v46, v46                                     // 000000004644: 7E5C452E
	v_rcp_f32_e32 v47, v47                                     // 000000004648: 7E5E452F
	v_mul_f32_e32 v148, v148, v44                              // 00000000464C: 0B285994
	v_mul_f32_e32 v149, v149, v45                              // 000000004650: 0B2A5B95
	v_mul_f32_e32 v150, v150, v46                              // 000000004654: 0B2C5D96
	v_mul_f32_e32 v151, v151, v47                              // 000000004658: 0B2E5F97
	v_mul_f32_e32 v148, v148, v84                              // 00000000465C: 0B28A994
	v_mul_f32_e32 v149, v149, v85                              // 000000004660: 0B2AAB95
	v_mul_f32_e32 v150, v150, v86                              // 000000004664: 0B2CAD96
	v_mul_f32_e32 v151, v151, v87                              // 000000004668: 0B2EAF97
	v_lshlrev_b32_e32 v44, 2, v0                               // 00000000466C: 24580082
	s_mul_i32 s60, s82, s71                                    // 000000004670: 923C4752
	v_add_u32_e64 v80, v44, s60                                // 000000004674: D1340050 0000792C
	v_mov_b32_e32 v81, 0                                       // 00000000467C: 7EA20280
	s_mul_i32 s60, s83, s71                                    // 000000004680: 923C4753
	v_add_u32_e64 v82, v44, s60                                // 000000004684: D1340052 0000792C
	v_mov_b32_e32 v83, 0                                       // 00000000468C: 7EA60280
	s_mul_i32 s60, s84, s71                                    // 000000004690: 923C4754
	v_add_u32_e64 v84, v44, s60                                // 000000004694: D1340054 0000792C
	v_mov_b32_e32 v85, 0                                       // 00000000469C: 7EAA0280
	s_mul_i32 s60, s85, s71                                    // 0000000046A0: 923C4755
	v_add_u32_e64 v86, v44, s60                                // 0000000046A4: D1340056 0000792C
	v_mov_b32_e32 v87, 0                                       // 0000000046AC: 7EAE0280
	s_mul_i32 s60, s86, s71                                    // 0000000046B0: 923C4756
	v_add_u32_e64 v88, v44, s60                                // 0000000046B4: D1340058 0000792C
	v_mov_b32_e32 v89, 0                                       // 0000000046BC: 7EB20280
	s_mul_i32 s60, s87, s71                                    // 0000000046C0: 923C4757
	v_add_u32_e64 v90, v44, s60                                // 0000000046C4: D134005A 0000792C
	v_mov_b32_e32 v91, 0                                       // 0000000046CC: 7EB60280
	s_mul_i32 s60, s88, s71                                    // 0000000046D0: 923C4758
	v_add_u32_e64 v92, v44, s60                                // 0000000046D4: D134005C 0000792C
	v_mov_b32_e32 v93, 0                                       // 0000000046DC: 7EBA0280
	s_mul_i32 s60, s89, s71                                    // 0000000046E0: 923C4759
	v_add_u32_e64 v94, v44, s60                                // 0000000046E4: D134005E 0000792C
	v_mov_b32_e32 v95, 0                                       // 0000000046EC: 7EBE0280
	buffer_load_dword v11, v5, s[16:19], 0 offen               // 0000000046F0: E0501000 80040B05
	v_mov_b32_e32 v20, 0x358637bd                              // 0000000046F8: 7E2802FF 358637BD
	v_mov_b32_e32 v21, 0x358637bd                              // 000000004700: 7E2A02FF 358637BD
	v_max3_f32 v20, |v128|, |v129|, v20                        // 000000004708: D1D30314 04530380
	v_max3_f32 v20, |v130|, |v131|, v20                        // 000000004710: D1D30314 04530782
	v_max3_f32 v21, |v132|, |v133|, v21                        // 000000004718: D1D30315 04570B84
	v_max3_f32 v21, |v134|, |v135|, v21                        // 000000004720: D1D30315 04570F86
	v_max3_f32 v20, |v136|, |v137|, v20                        // 000000004728: D1D30314 04531388
	v_max3_f32 v20, |v138|, |v139|, v20                        // 000000004730: D1D30314 0453178A
	v_max3_f32 v21, |v140|, |v141|, v21                        // 000000004738: D1D30315 04571B8C
	v_max3_f32 v21, |v142|, |v143|, v21                        // 000000004740: D1D30315 04571F8E
	v_max3_f32 v20, |v144|, |v145|, v20                        // 000000004748: D1D30314 04532390
	v_max3_f32 v20, |v146|, |v147|, v20                        // 000000004750: D1D30314 04532792
	v_max3_f32 v21, |v148|, |v149|, v21                        // 000000004758: D1D30315 04572B94
	v_max3_f32 v21, |v150|, |v151|, v21                        // 000000004760: D1D30315 04572F96
	v_lshlrev_b32_e32 v44, 3, v0                               // 000000004768: 24580083
	s_mul_i32 s60, 0x200, s7                                   // 00000000476C: 923C07FF 00000200
	v_add_u32_e32 v44, s60, v44                                // 000000004774: 6858583C
	ds_write_b64 v44, v[20:21] offset:16640                    // 000000004778: D89A4100 0000142C
	s_waitcnt lgkmcnt(0)                                       // 000000004780: BF8CC07F
	s_barrier                                                  // 000000004784: BF8A0000
	v_and_b32_e32 v44, 15, v0                                  // 000000004788: 2658008F
	v_lshlrev_b32_e32 v44, 3, v44                              // 00000000478C: 24585883
	ds_read_b64 v[96:97], v44 offset:16640                     // 000000004790: D8EC4100 6000002C
	ds_read_b64 v[98:99], v44 offset:16768                     // 000000004798: D8EC4180 6200002C
	ds_read_b64 v[100:101], v44 offset:16896                   // 0000000047A0: D8EC4200 6400002C
	ds_read_b64 v[102:103], v44 offset:17024                   // 0000000047A8: D8EC4280 6600002C
	ds_read_b64 v[104:105], v44 offset:17152                   // 0000000047B0: D8EC4300 6800002C
	ds_read_b64 v[106:107], v44 offset:17280                   // 0000000047B8: D8EC4380 6A00002C
	ds_read_b64 v[108:109], v44 offset:17408                   // 0000000047C0: D8EC4400 6C00002C
	ds_read_b64 v[110:111], v44 offset:17536                   // 0000000047C8: D8EC4480 6E00002C
	ds_read_b64 v[112:113], v44 offset:17664                   // 0000000047D0: D8EC4500 7000002C
	ds_read_b64 v[114:115], v44 offset:17792                   // 0000000047D8: D8EC4580 7200002C
	ds_read_b64 v[116:117], v44 offset:17920                   // 0000000047E0: D8EC4600 7400002C
	ds_read_b64 v[118:119], v44 offset:18048                   // 0000000047E8: D8EC4680 7600002C
	ds_read_b64 v[120:121], v44 offset:18176                   // 0000000047F0: D8EC4700 7800002C
	ds_read_b64 v[122:123], v44 offset:18304                   // 0000000047F8: D8EC4780 7A00002C
	ds_read_b64 v[124:125], v44 offset:18432                   // 000000004800: D8EC4800 7C00002C
	ds_read_b64 v[126:127], v44 offset:18560                   // 000000004808: D8EC4880 7E00002C
	s_waitcnt lgkmcnt(0)                                       // 000000004810: BF8CC07F
	v_max3_f32 v20, |v96|, |v98|, v20                          // 000000004814: D1D30314 0452C560
	v_max3_f32 v21, |v97|, |v99|, v21                          // 00000000481C: D1D30315 0456C761
	v_max3_f32 v20, |v100|, |v102|, v20                        // 000000004824: D1D30314 0452CD64
	v_max3_f32 v21, |v101|, |v103|, v21                        // 00000000482C: D1D30315 0456CF65
	v_max3_f32 v20, |v104|, |v106|, v20                        // 000000004834: D1D30314 0452D568
	v_max3_f32 v21, |v105|, |v107|, v21                        // 00000000483C: D1D30315 0456D769
	v_max3_f32 v20, |v108|, |v110|, v20                        // 000000004844: D1D30314 0452DD6C
	v_max3_f32 v21, |v109|, |v111|, v21                        // 00000000484C: D1D30315 0456DF6D
	v_max3_f32 v20, |v112|, |v114|, v20                        // 000000004854: D1D30314 0452E570
	v_max3_f32 v21, |v113|, |v115|, v21                        // 00000000485C: D1D30315 0456E771
	v_max3_f32 v20, |v116|, |v118|, v20                        // 000000004864: D1D30314 0452ED74
	v_max3_f32 v21, |v117|, |v119|, v21                        // 00000000486C: D1D30315 0456EF75
	v_max3_f32 v20, |v120|, |v122|, v20                        // 000000004874: D1D30314 0452F578
	v_max3_f32 v21, |v121|, |v123|, v21                        // 00000000487C: D1D30315 0456F779
	v_max3_f32 v20, |v124|, |v126|, v20                        // 000000004884: D1D30314 0452FD7C
	v_max3_f32 v21, |v125|, |v127|, v21                        // 00000000488C: D1D30315 0456FF7D
	v_rcp_f32_e32 v20, v20                                     // 000000004894: 7E284514
	v_rcp_f32_e32 v21, v21                                     // 000000004898: 7E2A4515
	v_mov_b32_e32 v44, 0x43e00000                              // 00000000489C: 7E5802FF 43E00000
	v_mul_f32_e32 v20, v44, v20                                // 0000000048A4: 0A28292C
	v_mul_f32_e32 v21, v44, v21                                // 0000000048A8: 0A2A2B2C
	v_mul_f32_e32 v128, v20, v128                              // 0000000048AC: 0B010114
	v_mul_f32_e32 v129, v20, v129                              // 0000000048B0: 0B030314
	v_mul_f32_e32 v130, v20, v130                              // 0000000048B4: 0B050514
	v_mul_f32_e32 v131, v20, v131                              // 0000000048B8: 0B070714
	v_cvt_pk_fp8_f32 v128, v128, v129                          // 0000000048BC: D2A20080 00030380
	v_cvt_pk_fp8_f32 v128, v130, v131 op_sel:[0,0,1]           // 0000000048C4: D2A24080 00030782
	v_mul_f32_e32 v132, v21, v132                              // 0000000048CC: 0B090915
	v_mul_f32_e32 v133, v21, v133                              // 0000000048D0: 0B0B0B15
	v_mul_f32_e32 v134, v21, v134                              // 0000000048D4: 0B0D0D15
	v_mul_f32_e32 v135, v21, v135                              // 0000000048D8: 0B0F0F15
	v_cvt_pk_fp8_f32 v129, v132, v133                          // 0000000048DC: D2A20081 00030B84
	v_cvt_pk_fp8_f32 v129, v134, v135 op_sel:[0,0,1]           // 0000000048E4: D2A24081 00030F86
	v_mul_f32_e32 v136, v20, v136                              // 0000000048EC: 0B111114
	v_mul_f32_e32 v137, v20, v137                              // 0000000048F0: 0B131314
	v_mul_f32_e32 v138, v20, v138                              // 0000000048F4: 0B151514
	v_mul_f32_e32 v139, v20, v139                              // 0000000048F8: 0B171714
	v_cvt_pk_fp8_f32 v130, v136, v137                          // 0000000048FC: D2A20082 00031388
	v_cvt_pk_fp8_f32 v130, v138, v139 op_sel:[0,0,1]           // 000000004904: D2A24082 0003178A
	v_mul_f32_e32 v140, v21, v140                              // 00000000490C: 0B191915
	v_mul_f32_e32 v141, v21, v141                              // 000000004910: 0B1B1B15
	v_mul_f32_e32 v142, v21, v142                              // 000000004914: 0B1D1D15
	v_mul_f32_e32 v143, v21, v143                              // 000000004918: 0B1F1F15
	v_cvt_pk_fp8_f32 v131, v140, v141                          // 00000000491C: D2A20083 00031B8C
	v_cvt_pk_fp8_f32 v131, v142, v143 op_sel:[0,0,1]           // 000000004924: D2A24083 00031F8E
	v_mul_f32_e32 v144, v20, v144                              // 00000000492C: 0B212114
	v_mul_f32_e32 v145, v20, v145                              // 000000004930: 0B232314
	v_mul_f32_e32 v146, v20, v146                              // 000000004934: 0B252514
	v_mul_f32_e32 v147, v20, v147                              // 000000004938: 0B272714
	v_cvt_pk_fp8_f32 v132, v144, v145                          // 00000000493C: D2A20084 00032390
	v_cvt_pk_fp8_f32 v132, v146, v147 op_sel:[0,0,1]           // 000000004944: D2A24084 00032792
	v_mul_f32_e32 v148, v21, v148                              // 00000000494C: 0B292915
	v_mul_f32_e32 v149, v21, v149                              // 000000004950: 0B2B2B15
	v_mul_f32_e32 v150, v21, v150                              // 000000004954: 0B2D2D15
	v_mul_f32_e32 v151, v21, v151                              // 000000004958: 0B2F2F15
	v_cvt_pk_fp8_f32 v133, v148, v149                          // 00000000495C: D2A20085 00032B94
	v_cvt_pk_fp8_f32 v133, v150, v151 op_sel:[0,0,1]           // 000000004964: D2A24085 00032F96
	v_rcp_f32_e32 v22, v20                                     // 00000000496C: 7E2C4514
	v_rcp_f32_e32 v23, v21                                     // 000000004970: 7E2E4515
	v_lshrrev_b32_e32 v44, 5, v0                               // 000000004974: 20580085
	v_lshlrev_b32_e32 v45, 5, v44                              // 000000004978: 245A5885
	v_and_b32_e32 v44, 31, v0                                  // 00000000497C: 2658009F
	v_lshrrev_b32_e32 v46, 4, v44                              // 000000004980: 205C5884
	v_add_u32_e32 v45, v46, v45                                // 000000004984: 685A5B2E
	v_and_b32_e32 v44, 15, v0                                  // 000000004988: 2658008F
	v_lshlrev_b32_e32 v44, 1, v44                              // 00000000498C: 24585881
	v_add_u32_e32 v45, v44, v45                                // 000000004990: 685A5B2C
	v_lshlrev_b32_e32 v44, 2, v45                              // 000000004994: 24585A82
	s_mul_i32 s60, 0x100, s7                                   // 000000004998: 923C07FF 00000100
	v_add_u32_e64 v44, v44, s60                                // 0000000049A0: D134002C 0000792C
	ds_write_b32 v44, v128 offset:18688                        // 0000000049A8: D81A4900 0000802C
	ds_write_b32 v44, v129 offset:21760                        // 0000000049B0: D81A5500 0000812C
	ds_write_b32 v44, v130 offset:19712                        // 0000000049B8: D81A4D00 0000822C
	ds_write_b32 v44, v131 offset:22784                        // 0000000049C0: D81A5900 0000832C
	ds_write_b32 v44, v132 offset:20736                        // 0000000049C8: D81A5100 0000842C
	ds_write_b32 v44, v133 offset:23808                        // 0000000049D0: D81A5D00 0000852C
	s_waitcnt lgkmcnt(0)                                       // 0000000049D8: BF8CC07F
	s_barrier                                                  // 0000000049DC: BF8A0000
	v_lshrrev_b32_e32 v44, 4, v0                               // 0000000049E0: 20580084
	v_lshlrev_b32_e32 v45, 6, v44                              // 0000000049E4: 245A5886
	v_and_b32_e32 v44, 15, v0                                  // 0000000049E8: 2658008F
	v_lshlrev_b32_e32 v44, 1, v44                              // 0000000049EC: 24585881
	v_add_u32_e32 v45, v44, v45                                // 0000000049F0: 685A5B2C
	v_lshlrev_b32_e32 v44, 2, v45                              // 0000000049F4: 24585A82
	ds_read_b64 v[128:129], v44 offset:18688                   // 0000000049F8: D8EC4900 8000002C
	ds_read_b64 v[130:131], v44 offset:18816                   // 000000004A00: D8EC4980 8200002C
	ds_read_b64 v[132:133], v44 offset:19712                   // 000000004A08: D8EC4D00 8400002C
	ds_read_b64 v[134:135], v44 offset:19840                   // 000000004A10: D8EC4D80 8600002C
	ds_read_b64 v[136:137], v44 offset:20736                   // 000000004A18: D8EC5100 8800002C
	ds_read_b64 v[138:139], v44 offset:20864                   // 000000004A20: D8EC5180 8A00002C
	ds_read_b64 v[140:141], v44 offset:21760                   // 000000004A28: D8EC5500 8C00002C
	ds_read_b64 v[142:143], v44 offset:21888                   // 000000004A30: D8EC5580 8E00002C
	ds_read_b64 v[144:145], v44 offset:22784                   // 000000004A38: D8EC5900 9000002C
	ds_read_b64 v[146:147], v44 offset:22912                   // 000000004A40: D8EC5980 9200002C
	ds_read_b64 v[148:149], v44 offset:23808                   // 000000004A48: D8EC5D00 9400002C
	ds_read_b64 v[150:151], v44 offset:23936                   // 000000004A50: D8EC5D80 9600002C
	s_add_u32 s12, s56, s12                                    // 000000004A58: 800C0C38
	s_addc_u32 s13, 0, s13                                     // 000000004A5C: 820D0D80
	s_add_u32 s16, s79, s16                                    // 000000004A60: 8010104F
	s_addc_u32 s17, 0, s17                                     // 000000004A64: 82111180
	s_waitcnt lgkmcnt(0)                                       // 000000004A68: BF8CC07F
	s_barrier                                                  // 000000004A6C: BF8A0000
	v_mov_b32_e32 v152, 0                                      // 000000004A70: 7F300280
	v_mov_b32_e32 v184, 0                                      // 000000004A74: 7F700280
	v_mov_b32_e32 v153, 0                                      // 000000004A78: 7F320280
	v_mov_b32_e32 v185, 0                                      // 000000004A7C: 7F720280
	v_mov_b32_e32 v154, 0                                      // 000000004A80: 7F340280
	v_mov_b32_e32 v186, 0                                      // 000000004A84: 7F740280
	v_mov_b32_e32 v155, 0                                      // 000000004A88: 7F360280
	v_mov_b32_e32 v187, 0                                      // 000000004A8C: 7F760280
	v_mov_b32_e32 v156, 0                                      // 000000004A90: 7F380280
	v_mov_b32_e32 v188, 0                                      // 000000004A94: 7F780280
	v_mov_b32_e32 v157, 0                                      // 000000004A98: 7F3A0280
	v_mov_b32_e32 v189, 0                                      // 000000004A9C: 7F7A0280
	v_mov_b32_e32 v158, 0                                      // 000000004AA0: 7F3C0280
	v_mov_b32_e32 v190, 0                                      // 000000004AA4: 7F7C0280
	v_mov_b32_e32 v159, 0                                      // 000000004AA8: 7F3E0280
	v_mov_b32_e32 v191, 0                                      // 000000004AAC: 7F7E0280
	v_mov_b32_e32 v160, 0                                      // 000000004AB0: 7F400280
	v_mov_b32_e32 v192, 0                                      // 000000004AB4: 7F800280
	v_mov_b32_e32 v161, 0                                      // 000000004AB8: 7F420280
	v_mov_b32_e32 v193, 0                                      // 000000004ABC: 7F820280
	v_mov_b32_e32 v162, 0                                      // 000000004AC0: 7F440280
	v_mov_b32_e32 v194, 0                                      // 000000004AC4: 7F840280
	v_mov_b32_e32 v163, 0                                      // 000000004AC8: 7F460280
	v_mov_b32_e32 v195, 0                                      // 000000004ACC: 7F860280
	v_mov_b32_e32 v164, 0                                      // 000000004AD0: 7F480280
	v_mov_b32_e32 v196, 0                                      // 000000004AD4: 7F880280
	v_mov_b32_e32 v165, 0                                      // 000000004AD8: 7F4A0280
	v_mov_b32_e32 v197, 0                                      // 000000004ADC: 7F8A0280
	v_mov_b32_e32 v166, 0                                      // 000000004AE0: 7F4C0280
	v_mov_b32_e32 v198, 0                                      // 000000004AE4: 7F8C0280
	v_mov_b32_e32 v167, 0                                      // 000000004AE8: 7F4E0280
	v_mov_b32_e32 v199, 0                                      // 000000004AEC: 7F8E0280
	ds_write_b64 v3, v[152:153] offset:18688                   // 000000004AF0: D89A4900 00009803
	ds_write_b64 v3, v[154:155] offset:27392                   // 000000004AF8: D89A6B00 00009A03
	ds_write_b64 v3, v[156:157] offset:20864                   // 000000004B00: D89A5180 00009C03
	ds_write_b64 v3, v[158:159] offset:29568                   // 000000004B08: D89A7380 00009E03
	ds_write_b64 v3, v[160:161] offset:23040                   // 000000004B10: D89A5A00 0000A003
	ds_write_b64 v3, v[162:163] offset:31744                   // 000000004B18: D89A7C00 0000A203
	ds_write_b64 v3, v[164:165] offset:25216                   // 000000004B20: D89A6280 0000A403
	ds_write_b64 v3, v[166:167] offset:33920                   // 000000004B28: D89A8480 0000A603
	s_mov_b32 s80, 0                                           // 000000004B30: BED00080
	s_waitcnt vmcnt(0) expcnt(0) lgkmcnt(0)                    // 000000004B34: BF8C0000

0000000000004b38 <label_074E>:
	s_waitcnt vmcnt(9) lgkmcnt(0)                              // 000000004B38: BF8C0079
	s_barrier                                                  // 000000004B3C: BF8A0000
	v_mfma_f32_16x16x32_fp8_fp8 v[152:155], a[0:1], v[128:129], 0// 000000004B40: D3F30098 0A030100
	ds_read_b32 v64, v4 offset:18688                           // 000000004B48: D86C4900 40000004
	ds_read_b32 v65, v4 offset:23040                           // 000000004B50: D86C5A00 41000004
	v_mfma_f32_16x16x32_fp8_fp8 v[152:155], a[2:3], v[130:131], v[152:155]// 000000004B58: D3F30098 0E630502
	buffer_load_dwordx4 a[48:51], v35, s[12:15], 0 offen       // 000000004B60: E05C1000 80833023
	v_mfma_f32_16x16x32_fp8_fp8 v[156:159], a[0:1], v[140:141], 0// 000000004B68: D3F3009C 0A031900
	ds_read_b32 v66, v4 offset:18720                           // 000000004B70: D86C4920 42000004
	ds_read_b32 v67, v4 offset:23072                           // 000000004B78: D86C5A20 43000004
	v_mfma_f32_16x16x32_fp8_fp8 v[156:159], a[2:3], v[142:143], v[156:159]// 000000004B80: D3F3009C 0E731D02
	v_mfma_f32_16x16x32_fp8_fp8 v[160:163], a[4:5], v[128:129], 0// 000000004B88: D3F300A0 0A030104
	ds_read_b32 v68, v4 offset:18752                           // 000000004B90: D86C4940 44000004
	ds_read_b32 v69, v4 offset:23104                           // 000000004B98: D86C5A40 45000004
	v_mfma_f32_16x16x32_fp8_fp8 v[160:163], a[6:7], v[130:131], v[160:163]// 000000004BA0: D3F300A0 0E830506
	buffer_load_dwordx4 a[52:55], v36, s[12:15], 0 offen       // 000000004BA8: E05C1000 80833424
	v_mfma_f32_16x16x32_fp8_fp8 v[164:167], a[4:5], v[140:141], 0// 000000004BB0: D3F300A4 0A031904
	ds_read_b32 v70, v4 offset:18784                           // 000000004BB8: D86C4960 46000004
	ds_read_b32 v71, v4 offset:23136                           // 000000004BC0: D86C5A60 47000004
	v_mfma_f32_16x16x32_fp8_fp8 v[164:167], a[6:7], v[142:143], v[164:167]// 000000004BC8: D3F300A4 0E931D06
	v_mfma_f32_16x16x32_fp8_fp8 v[168:171], a[8:9], v[128:129], 0// 000000004BD0: D3F300A8 0A030108
	ds_read_b32 v72, v4 offset:27392                           // 000000004BD8: D86C6B00 48000004
	ds_read_b32 v73, v4 offset:31744                           // 000000004BE0: D86C7C00 49000004
	v_mfma_f32_16x16x32_fp8_fp8 v[168:171], a[10:11], v[130:131], v[168:171]// 000000004BE8: D3F300A8 0EA3050A
	buffer_load_dwordx4 a[56:59], v37, s[12:15], 0 offen       // 000000004BF0: E05C1000 80833825
	v_mfma_f32_16x16x32_fp8_fp8 v[172:175], a[8:9], v[140:141], 0// 000000004BF8: D3F300AC 0A031908
	ds_read_b32 v74, v4 offset:27424                           // 000000004C00: D86C6B20 4A000004
	ds_read_b32 v75, v4 offset:31776                           // 000000004C08: D86C7C20 4B000004
	v_mfma_f32_16x16x32_fp8_fp8 v[172:175], a[10:11], v[142:143], v[172:175]// 000000004C10: D3F300AC 0EB31D0A
	v_mfma_f32_16x16x32_fp8_fp8 v[176:179], a[12:13], v[128:129], 0// 000000004C18: D3F300B0 0A03010C
	ds_read_b32 v76, v4 offset:27456                           // 000000004C20: D86C6B40 4C000004
	ds_read_b32 v77, v4 offset:31808                           // 000000004C28: D86C7C40 4D000004
	v_mfma_f32_16x16x32_fp8_fp8 v[176:179], a[14:15], v[130:131], v[176:179]// 000000004C30: D3F300B0 0EC3050E
	buffer_load_dwordx4 a[60:63], v38, s[12:15], 0 offen       // 000000004C38: E05C1000 80833C26
	s_add_u32 s12, s78, s12                                    // 000000004C40: 800C0C4E
	s_addc_u32 s13, 0, s13                                     // 000000004C44: 820D0D80
	v_mfma_f32_16x16x32_fp8_fp8 v[180:183], a[12:13], v[140:141], 0// 000000004C48: D3F300B4 0A03190C
	ds_read_b32 v78, v4 offset:27488                           // 000000004C50: D86C6B60 4E000004
	ds_read_b32 v79, v4 offset:31840                           // 000000004C58: D86C7C60 4F000004
	v_mfma_f32_16x16x32_fp8_fp8 v[180:183], a[14:15], v[142:143], v[180:183]// 000000004C60: D3F300B4 0ED31D0E
	s_waitcnt vmcnt(9)                                         // 000000004C68: BF8C0F79
	v_mfma_f32_16x16x32_fp8_fp8 v[152:155], a[16:17], v[132:133], v[152:155]// 000000004C6C: D3F30098 0E630910
	v_mfma_f32_16x16x32_fp8_fp8 v[152:155], a[18:19], v[134:135], v[152:155]// 000000004C74: D3F30098 0E630D12
	buffer_load_dwordx4 a[64:67], v35, s[12:15], 0 offen       // 000000004C7C: E05C1000 80834023
	v_mfma_f32_16x16x32_fp8_fp8 v[156:159], a[16:17], v[144:145], v[156:159]// 000000004C84: D3F3009C 0E732110
	v_mfma_f32_16x16x32_fp8_fp8 v[156:159], a[18:19], v[146:147], v[156:159]// 000000004C8C: D3F3009C 0E732512
	v_mfma_f32_16x16x32_fp8_fp8 v[160:163], a[20:21], v[132:133], v[160:163]// 000000004C94: D3F300A0 0E830914
	v_mfma_f32_16x16x32_fp8_fp8 v[160:163], a[22:23], v[134:135], v[160:163]// 000000004C9C: D3F300A0 0E830D16
	buffer_load_dwordx4 a[68:71], v36, s[12:15], 0 offen       // 000000004CA4: E05C1000 80834424
	v_mfma_f32_16x16x32_fp8_fp8 v[164:167], a[20:21], v[144:145], v[164:167]// 000000004CAC: D3F300A4 0E932114
	v_mfma_f32_16x16x32_fp8_fp8 v[164:167], a[22:23], v[146:147], v[164:167]// 000000004CB4: D3F300A4 0E932516
	v_mfma_f32_16x16x32_fp8_fp8 v[168:171], a[24:25], v[132:133], v[168:171]// 000000004CBC: D3F300A8 0EA30918
	v_mfma_f32_16x16x32_fp8_fp8 v[168:171], a[26:27], v[134:135], v[168:171]// 000000004CC4: D3F300A8 0EA30D1A
	buffer_load_dwordx4 a[72:75], v37, s[12:15], 0 offen       // 000000004CCC: E05C1000 80834825
	v_mfma_f32_16x16x32_fp8_fp8 v[172:175], a[24:25], v[144:145], v[172:175]// 000000004CD4: D3F300AC 0EB32118
	v_mfma_f32_16x16x32_fp8_fp8 v[172:175], a[26:27], v[146:147], v[172:175]// 000000004CDC: D3F300AC 0EB3251A
	v_mfma_f32_16x16x32_fp8_fp8 v[176:179], a[28:29], v[132:133], v[176:179]// 000000004CE4: D3F300B0 0EC3091C
	v_mfma_f32_16x16x32_fp8_fp8 v[176:179], a[30:31], v[134:135], v[176:179]// 000000004CEC: D3F300B0 0EC30D1E
	buffer_load_dwordx4 a[76:79], v38, s[12:15], 0 offen       // 000000004CF4: E05C1000 80834C26
	s_add_u32 s12, s78, s12                                    // 000000004CFC: 800C0C4E
	s_addc_u32 s13, 0, s13                                     // 000000004D00: 820D0D80
	v_mfma_f32_16x16x32_fp8_fp8 v[180:183], a[28:29], v[144:145], v[180:183]// 000000004D04: D3F300B4 0ED3211C
	v_mfma_f32_16x16x32_fp8_fp8 v[180:183], a[30:31], v[146:147], v[180:183]// 000000004D0C: D3F300B4 0ED3251E
	s_waitcnt vmcnt(8)                                         // 000000004D14: BF8C0F78
	v_mfma_f32_16x16x32_fp8_fp8 v[152:155], a[32:33], v[136:137], v[152:155]// 000000004D18: D3F30098 0E631120
	ds_write_b64 v3, v[184:185] offset:36096                   // 000000004D20: D89A8D00 0000B803
	v_mfma_f32_16x16x32_fp8_fp8 v[152:155], a[34:35], v[138:139], v[152:155]// 000000004D28: D3F30098 0E631522
	buffer_load_dwordx4 a[80:83], v35, s[12:15], 0 offen       // 000000004D30: E05C1000 80835023
	v_mfma_f32_16x16x32_fp8_fp8 v[156:159], a[32:33], v[148:149], v[156:159]// 000000004D38: D3F3009C 0E732920
	ds_write_b64 v3, v[186:187] offset:44800                   // 000000004D40: D89AAF00 0000BA03
	v_mfma_f32_16x16x32_fp8_fp8 v[156:159], a[34:35], v[150:151], v[156:159]// 000000004D48: D3F3009C 0E732D22
	buffer_load_dword v12, v5, s[16:19], 0 offen               // 000000004D50: E0501000 80040C05
	v_mfma_f32_16x16x32_fp8_fp8 v[160:163], a[36:37], v[136:137], v[160:163]// 000000004D58: D3F300A0 0E831124
	ds_write_b64 v3, v[188:189] offset:38272                   // 000000004D60: D89A9580 0000BC03
	v_mfma_f32_16x16x32_fp8_fp8 v[160:163], a[38:39], v[138:139], v[160:163]// 000000004D68: D3F300A0 0E831526
	buffer_load_dwordx4 a[84:87], v36, s[12:15], 0 offen       // 000000004D70: E05C1000 80835424
	v_mfma_f32_16x16x32_fp8_fp8 v[164:167], a[36:37], v[148:149], v[164:167]// 000000004D78: D3F300A4 0E932924
	ds_write_b64 v3, v[190:191] offset:46976                   // 000000004D80: D89AB780 0000BE03
	v_mfma_f32_16x16x32_fp8_fp8 v[164:167], a[38:39], v[150:151], v[164:167]// 000000004D88: D3F300A4 0E932D26
	v_mfma_f32_16x16x32_fp8_fp8 v[168:171], a[40:41], v[136:137], v[168:171]// 000000004D90: D3F300A8 0EA31128
	ds_write_b64 v3, v[192:193] offset:40448                   // 000000004D98: D89A9E00 0000C003
	v_mfma_f32_16x16x32_fp8_fp8 v[168:171], a[42:43], v[138:139], v[168:171]// 000000004DA0: D3F300A8 0EA3152A
	buffer_load_dwordx4 a[88:91], v37, s[12:15], 0 offen       // 000000004DA8: E05C1000 80835825
	v_mfma_f32_16x16x32_fp8_fp8 v[172:175], a[40:41], v[148:149], v[172:175]// 000000004DB0: D3F300AC 0EB32928
	ds_write_b64 v3, v[194:195] offset:49152                   // 000000004DB8: D89AC000 0000C203
	v_mfma_f32_16x16x32_fp8_fp8 v[172:175], a[42:43], v[150:151], v[172:175]// 000000004DC0: D3F300AC 0EB32D2A
	v_mfma_f32_16x16x32_fp8_fp8 v[176:179], a[44:45], v[136:137], v[176:179]// 000000004DC8: D3F300B0 0EC3112C
	ds_write_b64 v3, v[196:197] offset:42624                   // 000000004DD0: D89AA680 0000C403
	v_mfma_f32_16x16x32_fp8_fp8 v[176:179], a[46:47], v[138:139], v[176:179]// 000000004DD8: D3F300B0 0EC3152E
	buffer_load_dwordx4 a[92:95], v38, s[12:15], 0 offen       // 000000004DE0: E05C1000 80835C26
	v_mfma_f32_16x16x32_fp8_fp8 v[180:183], a[44:45], v[148:149], v[180:183]// 000000004DE8: D3F300B4 0ED3292C
	ds_write_b64 v3, v[198:199] offset:51328                   // 000000004DF0: D89AC880 0000C603
	v_mfma_f32_16x16x32_fp8_fp8 v[180:183], a[46:47], v[150:151], v[180:183]// 000000004DF8: D3F300B4 0ED32D2E
	s_add_u32 s60, 0x200, s80                                  // 000000004E00: 803C50FF 00000200
	s_cmp_lt_u32 s60, s81                                      // 000000004E08: BF0A513C
	s_cselect_b32 s56, s56, 0                                  // 000000004E0C: 85388038
	s_cselect_b32 s78, s78, 0                                  // 000000004E10: 854E804E
	s_cselect_b32 s79, s79, 0                                  // 000000004E14: 854F804F
	s_add_u32 s12, s56, s12                                    // 000000004E18: 800C0C38
	s_addc_u32 s13, 0, s13                                     // 000000004E1C: 820D0D80
	s_add_u32 s16, s79, s16                                    // 000000004E20: 8010104F
	s_addc_u32 s17, 0, s17                                     // 000000004E24: 82111180
	v_mul_f32_e32 v152, v22, v152                              // 000000004E28: 0B313116
	v_mul_f32_e32 v153, v22, v153                              // 000000004E2C: 0B333316
	v_mul_f32_e32 v154, v22, v154                              // 000000004E30: 0B353516
	v_mul_f32_e32 v155, v22, v155                              // 000000004E34: 0B373716
	v_mul_f32_dpp v152, v11, v152 row_newbcast:0 row_mask:0xf bank_mask:0xf// 000000004E38: 0B3130FA FF01500B
	v_mul_f32_dpp v153, v11, v153 row_newbcast:1 row_mask:0xf bank_mask:0xf// 000000004E40: 0B3332FA FF01510B
	v_mul_f32_dpp v154, v11, v154 row_newbcast:2 row_mask:0xf bank_mask:0xf// 000000004E48: 0B3534FA FF01520B
	v_mul_f32_dpp v155, v11, v155 row_newbcast:3 row_mask:0xf bank_mask:0xf// 000000004E50: 0B3736FA FF01530B
	v_mul_f32_e32 v152, v17, v152                              // 000000004E58: 0B313111
	v_mul_f32_e32 v153, v17, v153                              // 000000004E5C: 0B333311
	v_mul_f32_e32 v154, v17, v154                              // 000000004E60: 0B353511
	v_mul_f32_e32 v155, v17, v155                              // 000000004E64: 0B373711
	v_mul_f32_e32 v156, v23, v156                              // 000000004E68: 0B393917
	v_mul_f32_e32 v157, v23, v157                              // 000000004E6C: 0B3B3B17
	v_mul_f32_e32 v158, v23, v158                              // 000000004E70: 0B3D3D17
	v_mul_f32_e32 v159, v23, v159                              // 000000004E74: 0B3F3F17
	v_mul_f32_dpp v156, v11, v156 row_newbcast:0 row_mask:0xf bank_mask:0xf// 000000004E78: 0B3938FA FF01500B
	v_mul_f32_dpp v157, v11, v157 row_newbcast:1 row_mask:0xf bank_mask:0xf// 000000004E80: 0B3B3AFA FF01510B
	v_mul_f32_dpp v158, v11, v158 row_newbcast:2 row_mask:0xf bank_mask:0xf// 000000004E88: 0B3D3CFA FF01520B
	v_mul_f32_dpp v159, v11, v159 row_newbcast:3 row_mask:0xf bank_mask:0xf// 000000004E90: 0B3F3EFA FF01530B
	v_mul_f32_e32 v156, v18, v156                              // 000000004E98: 0B393912
	v_mul_f32_e32 v157, v18, v157                              // 000000004E9C: 0B3B3B12
	v_mul_f32_e32 v158, v18, v158                              // 000000004EA0: 0B3D3D12
	v_mul_f32_e32 v159, v18, v159                              // 000000004EA4: 0B3F3F12
	v_mul_f32_e32 v160, v22, v160                              // 000000004EA8: 0B414116
	v_mul_f32_e32 v161, v22, v161                              // 000000004EAC: 0B434316
	v_mul_f32_e32 v162, v22, v162                              // 000000004EB0: 0B454516
	v_mul_f32_e32 v163, v22, v163                              // 000000004EB4: 0B474716
	v_mul_f32_dpp v160, v11, v160 row_newbcast:4 row_mask:0xf bank_mask:0xf// 000000004EB8: 0B4140FA FF01540B
	v_mul_f32_dpp v161, v11, v161 row_newbcast:5 row_mask:0xf bank_mask:0xf// 000000004EC0: 0B4342FA FF01550B
	v_mul_f32_dpp v162, v11, v162 row_newbcast:6 row_mask:0xf bank_mask:0xf// 000000004EC8: 0B4544FA FF01560B
	v_mul_f32_dpp v163, v11, v163 row_newbcast:7 row_mask:0xf bank_mask:0xf// 000000004ED0: 0B4746FA FF01570B
	v_mul_f32_e32 v160, v17, v160                              // 000000004ED8: 0B414111
	v_mul_f32_e32 v161, v17, v161                              // 000000004EDC: 0B434311
	v_mul_f32_e32 v162, v17, v162                              // 000000004EE0: 0B454511
	v_mul_f32_e32 v163, v17, v163                              // 000000004EE4: 0B474711
	v_mul_f32_e32 v164, v23, v164                              // 000000004EE8: 0B494917
	v_mul_f32_e32 v165, v23, v165                              // 000000004EEC: 0B4B4B17
	v_mul_f32_e32 v166, v23, v166                              // 000000004EF0: 0B4D4D17
	v_mul_f32_e32 v167, v23, v167                              // 000000004EF4: 0B4F4F17
	v_mul_f32_dpp v164, v11, v164 row_newbcast:4 row_mask:0xf bank_mask:0xf// 000000004EF8: 0B4948FA FF01540B
	v_mul_f32_dpp v165, v11, v165 row_newbcast:5 row_mask:0xf bank_mask:0xf// 000000004F00: 0B4B4AFA FF01550B
	v_mul_f32_dpp v166, v11, v166 row_newbcast:6 row_mask:0xf bank_mask:0xf// 000000004F08: 0B4D4CFA FF01560B
	v_mul_f32_dpp v167, v11, v167 row_newbcast:7 row_mask:0xf bank_mask:0xf// 000000004F10: 0B4F4EFA FF01570B
	v_mul_f32_e32 v164, v18, v164                              // 000000004F18: 0B494912
	v_mul_f32_e32 v165, v18, v165                              // 000000004F1C: 0B4B4B12
	v_mul_f32_e32 v166, v18, v166                              // 000000004F20: 0B4D4D12
	v_mul_f32_e32 v167, v18, v167                              // 000000004F24: 0B4F4F12
	v_mul_f32_e32 v168, v22, v168                              // 000000004F28: 0B515116
	v_mul_f32_e32 v169, v22, v169                              // 000000004F2C: 0B535316
	v_mul_f32_e32 v170, v22, v170                              // 000000004F30: 0B555516
	v_mul_f32_e32 v171, v22, v171                              // 000000004F34: 0B575716
	v_mul_f32_dpp v168, v11, v168 row_newbcast:8 row_mask:0xf bank_mask:0xf// 000000004F38: 0B5150FA FF01580B
	v_mul_f32_dpp v169, v11, v169 row_newbcast:9 row_mask:0xf bank_mask:0xf// 000000004F40: 0B5352FA FF01590B
	v_mul_f32_dpp v170, v11, v170 row_newbcast:10 row_mask:0xf bank_mask:0xf// 000000004F48: 0B5554FA FF015A0B
	v_mul_f32_dpp v171, v11, v171 row_newbcast:11 row_mask:0xf bank_mask:0xf// 000000004F50: 0B5756FA FF015B0B
	v_mul_f32_e32 v168, v17, v168                              // 000000004F58: 0B515111
	v_mul_f32_e32 v169, v17, v169                              // 000000004F5C: 0B535311
	v_mul_f32_e32 v170, v17, v170                              // 000000004F60: 0B555511
	v_mul_f32_e32 v171, v17, v171                              // 000000004F64: 0B575711
	v_mul_f32_e32 v172, v23, v172                              // 000000004F68: 0B595917
	v_mul_f32_e32 v173, v23, v173                              // 000000004F6C: 0B5B5B17
	v_mul_f32_e32 v174, v23, v174                              // 000000004F70: 0B5D5D17
	v_mul_f32_e32 v175, v23, v175                              // 000000004F74: 0B5F5F17
	v_mul_f32_dpp v172, v11, v172 row_newbcast:8 row_mask:0xf bank_mask:0xf// 000000004F78: 0B5958FA FF01580B
	v_mul_f32_dpp v173, v11, v173 row_newbcast:9 row_mask:0xf bank_mask:0xf// 000000004F80: 0B5B5AFA FF01590B
	v_mul_f32_dpp v174, v11, v174 row_newbcast:10 row_mask:0xf bank_mask:0xf// 000000004F88: 0B5D5CFA FF015A0B
	v_mul_f32_dpp v175, v11, v175 row_newbcast:11 row_mask:0xf bank_mask:0xf// 000000004F90: 0B5F5EFA FF015B0B
	v_mul_f32_e32 v172, v18, v172                              // 000000004F98: 0B595912
	v_mul_f32_e32 v173, v18, v173                              // 000000004F9C: 0B5B5B12
	v_mul_f32_e32 v174, v18, v174                              // 000000004FA0: 0B5D5D12
	v_mul_f32_e32 v175, v18, v175                              // 000000004FA4: 0B5F5F12
	v_mul_f32_e32 v176, v22, v176                              // 000000004FA8: 0B616116
	v_mul_f32_e32 v177, v22, v177                              // 000000004FAC: 0B636316
	v_mul_f32_e32 v178, v22, v178                              // 000000004FB0: 0B656516
	v_mul_f32_e32 v179, v22, v179                              // 000000004FB4: 0B676716
	v_mul_f32_dpp v176, v11, v176 row_newbcast:12 row_mask:0xf bank_mask:0xf// 000000004FB8: 0B6160FA FF015C0B
	v_mul_f32_dpp v177, v11, v177 row_newbcast:13 row_mask:0xf bank_mask:0xf// 000000004FC0: 0B6362FA FF015D0B
	v_mul_f32_dpp v178, v11, v178 row_newbcast:14 row_mask:0xf bank_mask:0xf// 000000004FC8: 0B6564FA FF015E0B
	v_mul_f32_dpp v179, v11, v179 row_newbcast:15 row_mask:0xf bank_mask:0xf// 000000004FD0: 0B6766FA FF015F0B
	v_mul_f32_e32 v176, v17, v176                              // 000000004FD8: 0B616111
	v_mul_f32_e32 v177, v17, v177                              // 000000004FDC: 0B636311
	v_mul_f32_e32 v178, v17, v178                              // 000000004FE0: 0B656511
	v_mul_f32_e32 v179, v17, v179                              // 000000004FE4: 0B676711
	v_mul_f32_e32 v180, v23, v180                              // 000000004FE8: 0B696917
	v_mul_f32_e32 v181, v23, v181                              // 000000004FEC: 0B6B6B17
	v_mul_f32_e32 v182, v23, v182                              // 000000004FF0: 0B6D6D17
	v_mul_f32_e32 v183, v23, v183                              // 000000004FF4: 0B6F6F17
	v_mul_f32_dpp v180, v11, v180 row_newbcast:12 row_mask:0xf bank_mask:0xf// 000000004FF8: 0B6968FA FF015C0B
	v_mul_f32_dpp v181, v11, v181 row_newbcast:13 row_mask:0xf bank_mask:0xf// 000000005000: 0B6B6AFA FF015D0B
	v_mul_f32_dpp v182, v11, v182 row_newbcast:14 row_mask:0xf bank_mask:0xf// 000000005008: 0B6D6CFA FF015E0B
	v_mul_f32_dpp v183, v11, v183 row_newbcast:15 row_mask:0xf bank_mask:0xf// 000000005010: 0B6F6EFA FF015F0B
	v_mul_f32_e32 v180, v18, v180                              // 000000005018: 0B696912
	v_mul_f32_e32 v181, v18, v181                              // 00000000501C: 0B6B6B12
	v_mul_f32_e32 v182, v18, v182                              // 000000005020: 0B6D6D12
	v_mul_f32_e32 v183, v18, v183                              // 000000005024: 0B6F6F12
	v_cvt_pkrtz_f16_f32 v152, v152, v153                       // 000000005028: D2960098 00033398
	v_cvt_pkrtz_f16_f32 v153, v154, v155                       // 000000005030: D2960099 0003379A
	v_cvt_pkrtz_f16_f32 v154, v156, v157                       // 000000005038: D296009A 00033B9C
	v_cvt_pkrtz_f16_f32 v155, v158, v159                       // 000000005040: D296009B 00033F9E
	v_cvt_pkrtz_f16_f32 v156, v160, v161                       // 000000005048: D296009C 000343A0
	v_cvt_pkrtz_f16_f32 v157, v162, v163                       // 000000005050: D296009D 000347A2
	v_cvt_pkrtz_f16_f32 v158, v164, v165                       // 000000005058: D296009E 00034BA4
	v_cvt_pkrtz_f16_f32 v159, v166, v167                       // 000000005060: D296009F 00034FA6
	v_cvt_pkrtz_f16_f32 v160, v168, v169                       // 000000005068: D29600A0 000353A8
	v_cvt_pkrtz_f16_f32 v161, v170, v171                       // 000000005070: D29600A1 000357AA
	v_cvt_pkrtz_f16_f32 v162, v172, v173                       // 000000005078: D29600A2 00035BAC
	v_cvt_pkrtz_f16_f32 v163, v174, v175                       // 000000005080: D29600A3 00035FAE
	v_cvt_pkrtz_f16_f32 v164, v176, v177                       // 000000005088: D29600A4 000363B0
	v_cvt_pkrtz_f16_f32 v165, v178, v179                       // 000000005090: D29600A5 000367B2
	v_cvt_pkrtz_f16_f32 v166, v180, v181                       // 000000005098: D29600A6 00036BB4
	v_cvt_pkrtz_f16_f32 v167, v182, v183                       // 0000000050A0: D29600A7 00036FB6
	s_cmp_ge_u32 s80, 0x200                                    // 0000000050A8: BF09FF50 00000200
	s_cselect_b32 s59, 0x200, s59                              // 0000000050B0: 853B3BFF 00000200
	s_setvskip s20, 0                                          // 0000000050B8: BF108014
	global_atomic_pk_add_f16 v80, v64, s[8:9]                  // 0000000050BC: DD388000 00084050
	s_setvskip 0, 0                                            // 0000000050C4: BF108080
	s_setvskip s20, 0                                          // 0000000050C8: BF108014
	global_atomic_pk_add_f16 v80, v65, s[8:9] offset:256       // 0000000050CC: DD388100 00084150
	s_setvskip 0, 0                                            // 0000000050D4: BF108080
	s_setvskip s20, 1                                          // 0000000050D8: BF108114
	global_atomic_pk_add_f16 v82, v66, s[8:9]                  // 0000000050DC: DD388000 00084252
	s_setvskip 0, 0                                            // 0000000050E4: BF108080
	s_setvskip s20, 1                                          // 0000000050E8: BF108114
	global_atomic_pk_add_f16 v82, v67, s[8:9] offset:256       // 0000000050EC: DD388100 00084352
	s_setvskip 0, 0                                            // 0000000050F4: BF108080
	s_setvskip s20, 2                                          // 0000000050F8: BF108214
	global_atomic_pk_add_f16 v84, v68, s[8:9]                  // 0000000050FC: DD388000 00084454
	s_setvskip 0, 0                                            // 000000005104: BF108080
	s_setvskip s20, 2                                          // 000000005108: BF108214
	global_atomic_pk_add_f16 v84, v69, s[8:9] offset:256       // 00000000510C: DD388100 00084554
	s_setvskip 0, 0                                            // 000000005114: BF108080
	s_setvskip s20, 3                                          // 000000005118: BF108314
	global_atomic_pk_add_f16 v86, v70, s[8:9]                  // 00000000511C: DD388000 00084656
	s_setvskip 0, 0                                            // 000000005124: BF108080
	s_setvskip s20, 3                                          // 000000005128: BF108314
	global_atomic_pk_add_f16 v86, v71, s[8:9] offset:256       // 00000000512C: DD388100 00084756
	s_setvskip 0, 0                                            // 000000005134: BF108080
	s_setvskip s20, 4                                          // 000000005138: BF108414
	global_atomic_pk_add_f16 v88, v72, s[8:9]                  // 00000000513C: DD388000 00084858
	s_setvskip 0, 0                                            // 000000005144: BF108080
	s_setvskip s20, 4                                          // 000000005148: BF108414
	global_atomic_pk_add_f16 v88, v73, s[8:9] offset:256       // 00000000514C: DD388100 00084958
	s_setvskip 0, 0                                            // 000000005154: BF108080
	s_setvskip s20, 5                                          // 000000005158: BF108514
	global_atomic_pk_add_f16 v90, v74, s[8:9]                  // 00000000515C: DD388000 00084A5A
	s_setvskip 0, 0                                            // 000000005164: BF108080
	s_setvskip s20, 5                                          // 000000005168: BF108514
	global_atomic_pk_add_f16 v90, v75, s[8:9] offset:256       // 00000000516C: DD388100 00084B5A
	s_setvskip 0, 0                                            // 000000005174: BF108080
	s_setvskip s20, 6                                          // 000000005178: BF108614
	global_atomic_pk_add_f16 v92, v76, s[8:9]                  // 00000000517C: DD388000 00084C5C
	s_setvskip 0, 0                                            // 000000005184: BF108080
	s_setvskip s20, 6                                          // 000000005188: BF108614
	global_atomic_pk_add_f16 v92, v77, s[8:9] offset:256       // 00000000518C: DD388100 00084D5C
	s_setvskip 0, 0                                            // 000000005194: BF108080
	s_setvskip s20, 7                                          // 000000005198: BF108714
	global_atomic_pk_add_f16 v94, v78, s[8:9]                  // 00000000519C: DD388000 00084E5E
	s_setvskip 0, 0                                            // 0000000051A4: BF108080
	s_setvskip s20, 7                                          // 0000000051A8: BF108714
	global_atomic_pk_add_f16 v94, v79, s[8:9] offset:256       // 0000000051AC: DD388100 00084F5E
	s_setvskip 0, 0                                            // 0000000051B4: BF108080
	s_add_u32 s8, s59, s8                                      // 0000000051B8: 8008083B
	s_addc_u32 s9, 0, s9                                       // 0000000051BC: 82090980
	s_addk_i32 s80, 0x100                                      // 0000000051C0: B7500100
	s_cmp_lt_i32 s80, s81                                      // 0000000051C4: BF045150
	s_cbranch_scc0 label_0A99                                  // 0000000051C8: BF8401A6
	s_waitcnt vmcnt(9) lgkmcnt(0)                              // 0000000051CC: BF8C0079
	s_barrier                                                  // 0000000051D0: BF8A0000
	v_mfma_f32_16x16x32_fp8_fp8 v[184:187], a[48:49], v[128:129], 0// 0000000051D4: D3F300B8 0A030130
	ds_read_b32 v64, v4 offset:36096                           // 0000000051DC: D86C8D00 40000004
	ds_read_b32 v65, v4 offset:40448                           // 0000000051E4: D86C9E00 41000004
	v_mfma_f32_16x16x32_fp8_fp8 v[184:187], a[50:51], v[130:131], v[184:187]// 0000000051EC: D3F300B8 0EE30532
	buffer_load_dwordx4 a[0:3], v35, s[12:15], 0 offen         // 0000000051F4: E05C1000 80830023
	v_mfma_f32_16x16x32_fp8_fp8 v[188:191], a[48:49], v[140:141], 0// 0000000051FC: D3F300BC 0A031930
	ds_read_b32 v66, v4 offset:36128                           // 000000005204: D86C8D20 42000004
	ds_read_b32 v67, v4 offset:40480                           // 00000000520C: D86C9E20 43000004
	v_mfma_f32_16x16x32_fp8_fp8 v[188:191], a[50:51], v[142:143], v[188:191]// 000000005214: D3F300BC 0EF31D32
	v_mfma_f32_16x16x32_fp8_fp8 v[192:195], a[52:53], v[128:129], 0// 00000000521C: D3F300C0 0A030134
	ds_read_b32 v68, v4 offset:36160                           // 000000005224: D86C8D40 44000004
	ds_read_b32 v69, v4 offset:40512                           // 00000000522C: D86C9E40 45000004
	v_mfma_f32_16x16x32_fp8_fp8 v[192:195], a[54:55], v[130:131], v[192:195]// 000000005234: D3F300C0 0F030536
	buffer_load_dwordx4 a[4:7], v36, s[12:15], 0 offen         // 00000000523C: E05C1000 80830424
	v_mfma_f32_16x16x32_fp8_fp8 v[196:199], a[52:53], v[140:141], 0// 000000005244: D3F300C4 0A031934
	ds_read_b32 v70, v4 offset:36192                           // 00000000524C: D86C8D60 46000004
	ds_read_b32 v71, v4 offset:40544                           // 000000005254: D86C9E60 47000004
	v_mfma_f32_16x16x32_fp8_fp8 v[196:199], a[54:55], v[142:143], v[196:199]// 00000000525C: D3F300C4 0F131D36
	v_mfma_f32_16x16x32_fp8_fp8 v[200:203], a[56:57], v[128:129], 0// 000000005264: D3F300C8 0A030138
	ds_read_b32 v72, v4 offset:44800                           // 00000000526C: D86CAF00 48000004
	ds_read_b32 v73, v4 offset:49152                           // 000000005274: D86CC000 49000004
	v_mfma_f32_16x16x32_fp8_fp8 v[200:203], a[58:59], v[130:131], v[200:203]// 00000000527C: D3F300C8 0F23053A
	buffer_load_dwordx4 a[8:11], v37, s[12:15], 0 offen        // 000000005284: E05C1000 80830825
	v_mfma_f32_16x16x32_fp8_fp8 v[204:207], a[56:57], v[140:141], 0// 00000000528C: D3F300CC 0A031938
	ds_read_b32 v74, v4 offset:44832                           // 000000005294: D86CAF20 4A000004
	ds_read_b32 v75, v4 offset:49184                           // 00000000529C: D86CC020 4B000004
	v_mfma_f32_16x16x32_fp8_fp8 v[204:207], a[58:59], v[142:143], v[204:207]// 0000000052A4: D3F300CC 0F331D3A
	v_mfma_f32_16x16x32_fp8_fp8 v[208:211], a[60:61], v[128:129], 0// 0000000052AC: D3F300D0 0A03013C
	ds_read_b32 v76, v4 offset:44864                           // 0000000052B4: D86CAF40 4C000004
	ds_read_b32 v77, v4 offset:49216                           // 0000000052BC: D86CC040 4D000004
	v_mfma_f32_16x16x32_fp8_fp8 v[208:211], a[62:63], v[130:131], v[208:211]// 0000000052C4: D3F300D0 0F43053E
	buffer_load_dwordx4 a[12:15], v38, s[12:15], 0 offen       // 0000000052CC: E05C1000 80830C26
	s_add_u32 s12, s78, s12                                    // 0000000052D4: 800C0C4E
	s_addc_u32 s13, 0, s13                                     // 0000000052D8: 820D0D80
	v_mfma_f32_16x16x32_fp8_fp8 v[212:215], a[60:61], v[140:141], 0// 0000000052DC: D3F300D4 0A03193C
	ds_read_b32 v78, v4 offset:44896                           // 0000000052E4: D86CAF60 4E000004
	ds_read_b32 v79, v4 offset:49248                           // 0000000052EC: D86CC060 4F000004
	v_mfma_f32_16x16x32_fp8_fp8 v[212:215], a[62:63], v[142:143], v[212:215]// 0000000052F4: D3F300D4 0F531D3E
	s_waitcnt vmcnt(9)                                         // 0000000052FC: BF8C0F79
	v_mfma_f32_16x16x32_fp8_fp8 v[184:187], a[64:65], v[132:133], v[184:187]// 000000005300: D3F300B8 0EE30940
	v_mfma_f32_16x16x32_fp8_fp8 v[184:187], a[66:67], v[134:135], v[184:187]// 000000005308: D3F300B8 0EE30D42
	buffer_load_dwordx4 a[16:19], v35, s[12:15], 0 offen       // 000000005310: E05C1000 80831023
	v_mfma_f32_16x16x32_fp8_fp8 v[188:191], a[64:65], v[144:145], v[188:191]// 000000005318: D3F300BC 0EF32140
	v_mfma_f32_16x16x32_fp8_fp8 v[188:191], a[66:67], v[146:147], v[188:191]// 000000005320: D3F300BC 0EF32542
	v_mfma_f32_16x16x32_fp8_fp8 v[192:195], a[68:69], v[132:133], v[192:195]// 000000005328: D3F300C0 0F030944
	v_mfma_f32_16x16x32_fp8_fp8 v[192:195], a[70:71], v[134:135], v[192:195]// 000000005330: D3F300C0 0F030D46
	buffer_load_dwordx4 a[20:23], v36, s[12:15], 0 offen       // 000000005338: E05C1000 80831424
	v_mfma_f32_16x16x32_fp8_fp8 v[196:199], a[68:69], v[144:145], v[196:199]// 000000005340: D3F300C4 0F132144
	v_mfma_f32_16x16x32_fp8_fp8 v[196:199], a[70:71], v[146:147], v[196:199]// 000000005348: D3F300C4 0F132546
	v_mfma_f32_16x16x32_fp8_fp8 v[200:203], a[72:73], v[132:133], v[200:203]// 000000005350: D3F300C8 0F230948
	v_mfma_f32_16x16x32_fp8_fp8 v[200:203], a[74:75], v[134:135], v[200:203]// 000000005358: D3F300C8 0F230D4A
	buffer_load_dwordx4 a[24:27], v37, s[12:15], 0 offen       // 000000005360: E05C1000 80831825
	v_mfma_f32_16x16x32_fp8_fp8 v[204:207], a[72:73], v[144:145], v[204:207]// 000000005368: D3F300CC 0F332148
	v_mfma_f32_16x16x32_fp8_fp8 v[204:207], a[74:75], v[146:147], v[204:207]// 000000005370: D3F300CC 0F33254A
	v_mfma_f32_16x16x32_fp8_fp8 v[208:211], a[76:77], v[132:133], v[208:211]// 000000005378: D3F300D0 0F43094C
	v_mfma_f32_16x16x32_fp8_fp8 v[208:211], a[78:79], v[134:135], v[208:211]// 000000005380: D3F300D0 0F430D4E
	buffer_load_dwordx4 a[28:31], v38, s[12:15], 0 offen       // 000000005388: E05C1000 80831C26
	s_add_u32 s12, s78, s12                                    // 000000005390: 800C0C4E
	s_addc_u32 s13, 0, s13                                     // 000000005394: 820D0D80
	v_mfma_f32_16x16x32_fp8_fp8 v[212:215], a[76:77], v[144:145], v[212:215]// 000000005398: D3F300D4 0F53214C
	v_mfma_f32_16x16x32_fp8_fp8 v[212:215], a[78:79], v[146:147], v[212:215]// 0000000053A0: D3F300D4 0F53254E
	s_waitcnt vmcnt(8)                                         // 0000000053A8: BF8C0F78
	v_mfma_f32_16x16x32_fp8_fp8 v[184:187], a[80:81], v[136:137], v[184:187]// 0000000053AC: D3F300B8 0EE31150
	ds_write_b64 v3, v[152:153] offset:18688                   // 0000000053B4: D89A4900 00009803
	v_mfma_f32_16x16x32_fp8_fp8 v[184:187], a[82:83], v[138:139], v[184:187]// 0000000053BC: D3F300B8 0EE31552
	buffer_load_dwordx4 a[32:35], v35, s[12:15], 0 offen       // 0000000053C4: E05C1000 80832023
	v_mfma_f32_16x16x32_fp8_fp8 v[188:191], a[80:81], v[148:149], v[188:191]// 0000000053CC: D3F300BC 0EF32950
	ds_write_b64 v3, v[154:155] offset:27392                   // 0000000053D4: D89A6B00 00009A03
	v_mfma_f32_16x16x32_fp8_fp8 v[188:191], a[82:83], v[150:151], v[188:191]// 0000000053DC: D3F300BC 0EF32D52
	buffer_load_dword v11, v5, s[16:19], 0 offen               // 0000000053E4: E0501000 80040B05
	v_mfma_f32_16x16x32_fp8_fp8 v[192:195], a[84:85], v[136:137], v[192:195]// 0000000053EC: D3F300C0 0F031154
	ds_write_b64 v3, v[156:157] offset:20864                   // 0000000053F4: D89A5180 00009C03
	v_mfma_f32_16x16x32_fp8_fp8 v[192:195], a[86:87], v[138:139], v[192:195]// 0000000053FC: D3F300C0 0F031556
	buffer_load_dwordx4 a[36:39], v36, s[12:15], 0 offen       // 000000005404: E05C1000 80832424
	v_mfma_f32_16x16x32_fp8_fp8 v[196:199], a[84:85], v[148:149], v[196:199]// 00000000540C: D3F300C4 0F132954
	ds_write_b64 v3, v[158:159] offset:29568                   // 000000005414: D89A7380 00009E03
	v_mfma_f32_16x16x32_fp8_fp8 v[196:199], a[86:87], v[150:151], v[196:199]// 00000000541C: D3F300C4 0F132D56
	v_mfma_f32_16x16x32_fp8_fp8 v[200:203], a[88:89], v[136:137], v[200:203]// 000000005424: D3F300C8 0F231158
	ds_write_b64 v3, v[160:161] offset:23040                   // 00000000542C: D89A5A00 0000A003
	v_mfma_f32_16x16x32_fp8_fp8 v[200:203], a[90:91], v[138:139], v[200:203]// 000000005434: D3F300C8 0F23155A
	buffer_load_dwordx4 a[40:43], v37, s[12:15], 0 offen       // 00000000543C: E05C1000 80832825
	v_mfma_f32_16x16x32_fp8_fp8 v[204:207], a[88:89], v[148:149], v[204:207]// 000000005444: D3F300CC 0F332958
	ds_write_b64 v3, v[162:163] offset:31744                   // 00000000544C: D89A7C00 0000A203
	v_mfma_f32_16x16x32_fp8_fp8 v[204:207], a[90:91], v[150:151], v[204:207]// 000000005454: D3F300CC 0F332D5A
	v_mfma_f32_16x16x32_fp8_fp8 v[208:211], a[92:93], v[136:137], v[208:211]// 00000000545C: D3F300D0 0F43115C
	ds_write_b64 v3, v[164:165] offset:25216                   // 000000005464: D89A6280 0000A403
	v_mfma_f32_16x16x32_fp8_fp8 v[208:211], a[94:95], v[138:139], v[208:211]// 00000000546C: D3F300D0 0F43155E
	buffer_load_dwordx4 a[44:47], v38, s[12:15], 0 offen       // 000000005474: E05C1000 80832C26
	v_mfma_f32_16x16x32_fp8_fp8 v[212:215], a[92:93], v[148:149], v[212:215]// 00000000547C: D3F300D4 0F53295C
	ds_write_b64 v3, v[166:167] offset:33920                   // 000000005484: D89A8480 0000A603
	v_mfma_f32_16x16x32_fp8_fp8 v[212:215], a[94:95], v[150:151], v[212:215]// 00000000548C: D3F300D4 0F532D5E
	s_add_u32 s60, 0x200, s80                                  // 000000005494: 803C50FF 00000200
	s_cmp_lt_u32 s60, s81                                      // 00000000549C: BF0A513C
	s_cselect_b32 s56, s56, 0                                  // 0000000054A0: 85388038
	s_cselect_b32 s78, s78, 0                                  // 0000000054A4: 854E804E
	s_cselect_b32 s79, s79, 0                                  // 0000000054A8: 854F804F
	s_add_u32 s12, s56, s12                                    // 0000000054AC: 800C0C38
	s_addc_u32 s13, 0, s13                                     // 0000000054B0: 820D0D80
	s_add_u32 s16, s79, s16                                    // 0000000054B4: 8010104F
	s_addc_u32 s17, 0, s17                                     // 0000000054B8: 82111180
	v_mul_f32_e32 v184, v22, v184                              // 0000000054BC: 0B717116
	v_mul_f32_e32 v185, v22, v185                              // 0000000054C0: 0B737316
	v_mul_f32_e32 v186, v22, v186                              // 0000000054C4: 0B757516
	v_mul_f32_e32 v187, v22, v187                              // 0000000054C8: 0B777716
	v_mul_f32_dpp v184, v12, v184 row_newbcast:0 row_mask:0xf bank_mask:0xf// 0000000054CC: 0B7170FA FF01500C
	v_mul_f32_dpp v185, v12, v185 row_newbcast:1 row_mask:0xf bank_mask:0xf// 0000000054D4: 0B7372FA FF01510C
	v_mul_f32_dpp v186, v12, v186 row_newbcast:2 row_mask:0xf bank_mask:0xf// 0000000054DC: 0B7574FA FF01520C
	v_mul_f32_dpp v187, v12, v187 row_newbcast:3 row_mask:0xf bank_mask:0xf// 0000000054E4: 0B7776FA FF01530C
	v_mul_f32_e32 v184, v17, v184                              // 0000000054EC: 0B717111
	v_mul_f32_e32 v185, v17, v185                              // 0000000054F0: 0B737311
	v_mul_f32_e32 v186, v17, v186                              // 0000000054F4: 0B757511
	v_mul_f32_e32 v187, v17, v187                              // 0000000054F8: 0B777711
	v_mul_f32_e32 v188, v23, v188                              // 0000000054FC: 0B797917
	v_mul_f32_e32 v189, v23, v189                              // 000000005500: 0B7B7B17
	v_mul_f32_e32 v190, v23, v190                              // 000000005504: 0B7D7D17
	v_mul_f32_e32 v191, v23, v191                              // 000000005508: 0B7F7F17
	v_mul_f32_dpp v188, v12, v188 row_newbcast:0 row_mask:0xf bank_mask:0xf// 00000000550C: 0B7978FA FF01500C
	v_mul_f32_dpp v189, v12, v189 row_newbcast:1 row_mask:0xf bank_mask:0xf// 000000005514: 0B7B7AFA FF01510C
	v_mul_f32_dpp v190, v12, v190 row_newbcast:2 row_mask:0xf bank_mask:0xf// 00000000551C: 0B7D7CFA FF01520C
	v_mul_f32_dpp v191, v12, v191 row_newbcast:3 row_mask:0xf bank_mask:0xf// 000000005524: 0B7F7EFA FF01530C
	v_mul_f32_e32 v188, v18, v188                              // 00000000552C: 0B797912
	v_mul_f32_e32 v189, v18, v189                              // 000000005530: 0B7B7B12
	v_mul_f32_e32 v190, v18, v190                              // 000000005534: 0B7D7D12
	v_mul_f32_e32 v191, v18, v191                              // 000000005538: 0B7F7F12
	v_mul_f32_e32 v192, v22, v192                              // 00000000553C: 0B818116
	v_mul_f32_e32 v193, v22, v193                              // 000000005540: 0B838316
	v_mul_f32_e32 v194, v22, v194                              // 000000005544: 0B858516
	v_mul_f32_e32 v195, v22, v195                              // 000000005548: 0B878716
	v_mul_f32_dpp v192, v12, v192 row_newbcast:4 row_mask:0xf bank_mask:0xf// 00000000554C: 0B8180FA FF01540C
	v_mul_f32_dpp v193, v12, v193 row_newbcast:5 row_mask:0xf bank_mask:0xf// 000000005554: 0B8382FA FF01550C
	v_mul_f32_dpp v194, v12, v194 row_newbcast:6 row_mask:0xf bank_mask:0xf// 00000000555C: 0B8584FA FF01560C
	v_mul_f32_dpp v195, v12, v195 row_newbcast:7 row_mask:0xf bank_mask:0xf// 000000005564: 0B8786FA FF01570C
	v_mul_f32_e32 v192, v17, v192                              // 00000000556C: 0B818111
	v_mul_f32_e32 v193, v17, v193                              // 000000005570: 0B838311
	v_mul_f32_e32 v194, v17, v194                              // 000000005574: 0B858511
	v_mul_f32_e32 v195, v17, v195                              // 000000005578: 0B878711
	v_mul_f32_e32 v196, v23, v196                              // 00000000557C: 0B898917
	v_mul_f32_e32 v197, v23, v197                              // 000000005580: 0B8B8B17
	v_mul_f32_e32 v198, v23, v198                              // 000000005584: 0B8D8D17
	v_mul_f32_e32 v199, v23, v199                              // 000000005588: 0B8F8F17
	v_mul_f32_dpp v196, v12, v196 row_newbcast:4 row_mask:0xf bank_mask:0xf// 00000000558C: 0B8988FA FF01540C
	v_mul_f32_dpp v197, v12, v197 row_newbcast:5 row_mask:0xf bank_mask:0xf// 000000005594: 0B8B8AFA FF01550C
	v_mul_f32_dpp v198, v12, v198 row_newbcast:6 row_mask:0xf bank_mask:0xf// 00000000559C: 0B8D8CFA FF01560C
	v_mul_f32_dpp v199, v12, v199 row_newbcast:7 row_mask:0xf bank_mask:0xf// 0000000055A4: 0B8F8EFA FF01570C
	v_mul_f32_e32 v196, v18, v196                              // 0000000055AC: 0B898912
	v_mul_f32_e32 v197, v18, v197                              // 0000000055B0: 0B8B8B12
	v_mul_f32_e32 v198, v18, v198                              // 0000000055B4: 0B8D8D12
	v_mul_f32_e32 v199, v18, v199                              // 0000000055B8: 0B8F8F12
	v_mul_f32_e32 v200, v22, v200                              // 0000000055BC: 0B919116
	v_mul_f32_e32 v201, v22, v201                              // 0000000055C0: 0B939316
	v_mul_f32_e32 v202, v22, v202                              // 0000000055C4: 0B959516
	v_mul_f32_e32 v203, v22, v203                              // 0000000055C8: 0B979716
	v_mul_f32_dpp v200, v12, v200 row_newbcast:8 row_mask:0xf bank_mask:0xf// 0000000055CC: 0B9190FA FF01580C
	v_mul_f32_dpp v201, v12, v201 row_newbcast:9 row_mask:0xf bank_mask:0xf// 0000000055D4: 0B9392FA FF01590C
	v_mul_f32_dpp v202, v12, v202 row_newbcast:10 row_mask:0xf bank_mask:0xf// 0000000055DC: 0B9594FA FF015A0C
	v_mul_f32_dpp v203, v12, v203 row_newbcast:11 row_mask:0xf bank_mask:0xf// 0000000055E4: 0B9796FA FF015B0C
	v_mul_f32_e32 v200, v17, v200                              // 0000000055EC: 0B919111
	v_mul_f32_e32 v201, v17, v201                              // 0000000055F0: 0B939311
	v_mul_f32_e32 v202, v17, v202                              // 0000000055F4: 0B959511
	v_mul_f32_e32 v203, v17, v203                              // 0000000055F8: 0B979711
	v_mul_f32_e32 v204, v23, v204                              // 0000000055FC: 0B999917
	v_mul_f32_e32 v205, v23, v205                              // 000000005600: 0B9B9B17
	v_mul_f32_e32 v206, v23, v206                              // 000000005604: 0B9D9D17
	v_mul_f32_e32 v207, v23, v207                              // 000000005608: 0B9F9F17
	v_mul_f32_dpp v204, v12, v204 row_newbcast:8 row_mask:0xf bank_mask:0xf// 00000000560C: 0B9998FA FF01580C
	v_mul_f32_dpp v205, v12, v205 row_newbcast:9 row_mask:0xf bank_mask:0xf// 000000005614: 0B9B9AFA FF01590C
	v_mul_f32_dpp v206, v12, v206 row_newbcast:10 row_mask:0xf bank_mask:0xf// 00000000561C: 0B9D9CFA FF015A0C
	v_mul_f32_dpp v207, v12, v207 row_newbcast:11 row_mask:0xf bank_mask:0xf// 000000005624: 0B9F9EFA FF015B0C
	v_mul_f32_e32 v204, v18, v204                              // 00000000562C: 0B999912
	v_mul_f32_e32 v205, v18, v205                              // 000000005630: 0B9B9B12
	v_mul_f32_e32 v206, v18, v206                              // 000000005634: 0B9D9D12
	v_mul_f32_e32 v207, v18, v207                              // 000000005638: 0B9F9F12
	v_mul_f32_e32 v208, v22, v208                              // 00000000563C: 0BA1A116
	v_mul_f32_e32 v209, v22, v209                              // 000000005640: 0BA3A316
	v_mul_f32_e32 v210, v22, v210                              // 000000005644: 0BA5A516
	v_mul_f32_e32 v211, v22, v211                              // 000000005648: 0BA7A716
	v_mul_f32_dpp v208, v12, v208 row_newbcast:12 row_mask:0xf bank_mask:0xf// 00000000564C: 0BA1A0FA FF015C0C
	v_mul_f32_dpp v209, v12, v209 row_newbcast:13 row_mask:0xf bank_mask:0xf// 000000005654: 0BA3A2FA FF015D0C
	v_mul_f32_dpp v210, v12, v210 row_newbcast:14 row_mask:0xf bank_mask:0xf// 00000000565C: 0BA5A4FA FF015E0C
	v_mul_f32_dpp v211, v12, v211 row_newbcast:15 row_mask:0xf bank_mask:0xf// 000000005664: 0BA7A6FA FF015F0C
	v_mul_f32_e32 v208, v17, v208                              // 00000000566C: 0BA1A111
	v_mul_f32_e32 v209, v17, v209                              // 000000005670: 0BA3A311
	v_mul_f32_e32 v210, v17, v210                              // 000000005674: 0BA5A511
	v_mul_f32_e32 v211, v17, v211                              // 000000005678: 0BA7A711
	v_mul_f32_e32 v212, v23, v212                              // 00000000567C: 0BA9A917
	v_mul_f32_e32 v213, v23, v213                              // 000000005680: 0BABAB17
	v_mul_f32_e32 v214, v23, v214                              // 000000005684: 0BADAD17
	v_mul_f32_e32 v215, v23, v215                              // 000000005688: 0BAFAF17
	v_mul_f32_dpp v212, v12, v212 row_newbcast:12 row_mask:0xf bank_mask:0xf// 00000000568C: 0BA9A8FA FF015C0C
	v_mul_f32_dpp v213, v12, v213 row_newbcast:13 row_mask:0xf bank_mask:0xf// 000000005694: 0BABAAFA FF015D0C
	v_mul_f32_dpp v214, v12, v214 row_newbcast:14 row_mask:0xf bank_mask:0xf// 00000000569C: 0BADACFA FF015E0C
	v_mul_f32_dpp v215, v12, v215 row_newbcast:15 row_mask:0xf bank_mask:0xf// 0000000056A4: 0BAFAEFA FF015F0C
	v_mul_f32_e32 v212, v18, v212                              // 0000000056AC: 0BA9A912
	v_mul_f32_e32 v213, v18, v213                              // 0000000056B0: 0BABAB12
	v_mul_f32_e32 v214, v18, v214                              // 0000000056B4: 0BADAD12
	v_mul_f32_e32 v215, v18, v215                              // 0000000056B8: 0BAFAF12
	v_cvt_pkrtz_f16_f32 v184, v184, v185                       // 0000000056BC: D29600B8 000373B8
	v_cvt_pkrtz_f16_f32 v185, v186, v187                       // 0000000056C4: D29600B9 000377BA
	v_cvt_pkrtz_f16_f32 v186, v188, v189                       // 0000000056CC: D29600BA 00037BBC
	v_cvt_pkrtz_f16_f32 v187, v190, v191                       // 0000000056D4: D29600BB 00037FBE
	v_cvt_pkrtz_f16_f32 v188, v192, v193                       // 0000000056DC: D29600BC 000383C0
	v_cvt_pkrtz_f16_f32 v189, v194, v195                       // 0000000056E4: D29600BD 000387C2
	v_cvt_pkrtz_f16_f32 v190, v196, v197                       // 0000000056EC: D29600BE 00038BC4
	v_cvt_pkrtz_f16_f32 v191, v198, v199                       // 0000000056F4: D29600BF 00038FC6
	v_cvt_pkrtz_f16_f32 v192, v200, v201                       // 0000000056FC: D29600C0 000393C8
	v_cvt_pkrtz_f16_f32 v193, v202, v203                       // 000000005704: D29600C1 000397CA
	v_cvt_pkrtz_f16_f32 v194, v204, v205                       // 00000000570C: D29600C2 00039BCC
	v_cvt_pkrtz_f16_f32 v195, v206, v207                       // 000000005714: D29600C3 00039FCE
	v_cvt_pkrtz_f16_f32 v196, v208, v209                       // 00000000571C: D29600C4 0003A3D0
	v_cvt_pkrtz_f16_f32 v197, v210, v211                       // 000000005724: D29600C5 0003A7D2
	v_cvt_pkrtz_f16_f32 v198, v212, v213                       // 00000000572C: D29600C6 0003ABD4
	v_cvt_pkrtz_f16_f32 v199, v214, v215                       // 000000005734: D29600C7 0003AFD6
	s_cmp_ge_u32 s80, 0x200                                    // 00000000573C: BF09FF50 00000200
	s_cselect_b32 s59, 0x200, s59                              // 000000005744: 853B3BFF 00000200
	s_setvskip s20, 0                                          // 00000000574C: BF108014
	global_atomic_pk_add_f16 v80, v64, s[8:9]                  // 000000005750: DD388000 00084050
	s_setvskip 0, 0                                            // 000000005758: BF108080
	s_setvskip s20, 0                                          // 00000000575C: BF108014
	global_atomic_pk_add_f16 v80, v65, s[8:9] offset:256       // 000000005760: DD388100 00084150
	s_setvskip 0, 0                                            // 000000005768: BF108080
	s_setvskip s20, 1                                          // 00000000576C: BF108114
	global_atomic_pk_add_f16 v82, v66, s[8:9]                  // 000000005770: DD388000 00084252
	s_setvskip 0, 0                                            // 000000005778: BF108080
	s_setvskip s20, 1                                          // 00000000577C: BF108114
	global_atomic_pk_add_f16 v82, v67, s[8:9] offset:256       // 000000005780: DD388100 00084352
	s_setvskip 0, 0                                            // 000000005788: BF108080
	s_setvskip s20, 2                                          // 00000000578C: BF108214
	global_atomic_pk_add_f16 v84, v68, s[8:9]                  // 000000005790: DD388000 00084454
	s_setvskip 0, 0                                            // 000000005798: BF108080
	s_setvskip s20, 2                                          // 00000000579C: BF108214
	global_atomic_pk_add_f16 v84, v69, s[8:9] offset:256       // 0000000057A0: DD388100 00084554
	s_setvskip 0, 0                                            // 0000000057A8: BF108080
	s_setvskip s20, 3                                          // 0000000057AC: BF108314
	global_atomic_pk_add_f16 v86, v70, s[8:9]                  // 0000000057B0: DD388000 00084656
	s_setvskip 0, 0                                            // 0000000057B8: BF108080
	s_setvskip s20, 3                                          // 0000000057BC: BF108314
	global_atomic_pk_add_f16 v86, v71, s[8:9] offset:256       // 0000000057C0: DD388100 00084756
	s_setvskip 0, 0                                            // 0000000057C8: BF108080
	s_setvskip s20, 4                                          // 0000000057CC: BF108414
	global_atomic_pk_add_f16 v88, v72, s[8:9]                  // 0000000057D0: DD388000 00084858
	s_setvskip 0, 0                                            // 0000000057D8: BF108080
	s_setvskip s20, 4                                          // 0000000057DC: BF108414
	global_atomic_pk_add_f16 v88, v73, s[8:9] offset:256       // 0000000057E0: DD388100 00084958
	s_setvskip 0, 0                                            // 0000000057E8: BF108080
	s_setvskip s20, 5                                          // 0000000057EC: BF108514
	global_atomic_pk_add_f16 v90, v74, s[8:9]                  // 0000000057F0: DD388000 00084A5A
	s_setvskip 0, 0                                            // 0000000057F8: BF108080
	s_setvskip s20, 5                                          // 0000000057FC: BF108514
	global_atomic_pk_add_f16 v90, v75, s[8:9] offset:256       // 000000005800: DD388100 00084B5A
	s_setvskip 0, 0                                            // 000000005808: BF108080
	s_setvskip s20, 6                                          // 00000000580C: BF108614
	global_atomic_pk_add_f16 v92, v76, s[8:9]                  // 000000005810: DD388000 00084C5C
	s_setvskip 0, 0                                            // 000000005818: BF108080
	s_setvskip s20, 6                                          // 00000000581C: BF108614
	global_atomic_pk_add_f16 v92, v77, s[8:9] offset:256       // 000000005820: DD388100 00084D5C
	s_setvskip 0, 0                                            // 000000005828: BF108080
	s_setvskip s20, 7                                          // 00000000582C: BF108714
	global_atomic_pk_add_f16 v94, v78, s[8:9]                  // 000000005830: DD388000 00084E5E
	s_setvskip 0, 0                                            // 000000005838: BF108080
	s_setvskip s20, 7                                          // 00000000583C: BF108714
	global_atomic_pk_add_f16 v94, v79, s[8:9] offset:256       // 000000005840: DD388100 00084F5E
	s_setvskip 0, 0                                            // 000000005848: BF108080
	s_add_u32 s8, s59, s8                                      // 00000000584C: 8008083B
	s_addc_u32 s9, 0, s9                                       // 000000005850: 82090980
	s_addk_i32 s80, 0x100                                      // 000000005854: B7500100
	s_cmp_lt_i32 s80, s81                                      // 000000005858: BF045150
	s_cbranch_scc0 label_0A99                                  // 00000000585C: BF840001
	s_branch label_074E                                        // 000000005860: BF82FCB5

0000000000005864 <label_0A99>:
	s_nop 0                                                    // 000000005864: BF800000
	s_nop 0                                                    // 000000005868: BF800000
	s_branch label_130F                                        // 00000000586C: BF820873

0000000000005870 <label_0A9C>:
	s_waitcnt vmcnt(4) lgkmcnt(0)                              // 000000005870: BF8C0074
	s_barrier                                                  // 000000005874: BF8A0000
	v_mfma_f32_16x16x32_fp8_fp8 v[128:131], a[0:1], v[152:153], v[128:131]// 000000005878: D3F30080 0E033100
	buffer_load_dwordx4 a[48:51], v32, s[92:95], 0 offen       // 000000005880: E05C1000 80973020
	v_mfma_f32_16x16x32_fp8_fp8 v[128:131], a[2:3], v[154:155], v[128:131]// 000000005888: D3F30080 0E033502
	v_mfma_f32_16x16x32_fp8_fp8 v[128:131], a[4:5], v[156:157], v[128:131]// 000000005890: D3F30080 0E033904
	buffer_load_dword v24, s[20:23], 0 offen lds               // 000000005898: E0511000 80050018
	s_add_u32 m0, 0x100, s51                                   // 0000000058A0: 807C33FF 00000100
	v_mfma_f32_16x16x32_fp8_fp8 v[128:131], a[6:7], v[158:159], v[128:131]// 0000000058A8: D3F30080 0E033D06
	v_mfma_f32_16x16x32_fp8_fp8 v[128:131], a[8:9], v[160:161], v[128:131]// 0000000058B0: D3F30080 0E034108
	buffer_load_dwordx4 a[52:55], v32, s[92:95], 0 offen offset:1024// 0000000058B8: E05C1400 80973420
	v_mfma_f32_16x16x32_fp8_fp8 v[128:131], a[10:11], v[162:163], v[128:131]// 0000000058C0: D3F30080 0E03450A
	v_mfma_f32_16x16x32_fp8_fp8 v[128:131], a[12:13], v[164:165], v[128:131]// 0000000058C8: D3F30080 0E03490C
	buffer_load_dword v25, s[20:23], 0 offen lds               // 0000000058D0: E0511000 80050019
	s_add_u32 m0, 0x200, s51                                   // 0000000058D8: 807C33FF 00000200
	v_mfma_f32_16x16x32_fp8_fp8 v[128:131], a[14:15], v[166:167], v[128:131]// 0000000058E0: D3F30080 0E034D0E
	v_mfma_f32_16x16x32_fp8_fp8 v[132:135], a[0:1], v[168:169], v[132:135]// 0000000058E8: D3F30084 0E135100
	buffer_load_dwordx4 a[56:59], v32, s[92:95], 0 offen offset:2048// 0000000058F0: E05C1800 80973820
	v_mfma_f32_16x16x32_fp8_fp8 v[132:135], a[2:3], v[170:171], v[132:135]// 0000000058F8: D3F30084 0E135502
	v_mfma_f32_16x16x32_fp8_fp8 v[132:135], a[4:5], v[172:173], v[132:135]// 000000005900: D3F30084 0E135904
	buffer_load_dword v26, s[20:23], 0 offen lds               // 000000005908: E0511000 8005001A
	s_add_u32 m0, 0x300, s51                                   // 000000005910: 807C33FF 00000300
	v_mfma_f32_16x16x32_fp8_fp8 v[132:135], a[6:7], v[174:175], v[132:135]// 000000005918: D3F30084 0E135D06
	v_mfma_f32_16x16x32_fp8_fp8 v[132:135], a[8:9], v[176:177], v[132:135]// 000000005920: D3F30084 0E136108
	buffer_load_dwordx4 a[60:63], v32, s[92:95], 0 offen offset:3072// 000000005928: E05C1C00 80973C20
	v_mfma_f32_16x16x32_fp8_fp8 v[132:135], a[10:11], v[178:179], v[132:135]// 000000005930: D3F30084 0E13650A
	v_mfma_f32_16x16x32_fp8_fp8 v[132:135], a[12:13], v[180:181], v[132:135]// 000000005938: D3F30084 0E13690C
	buffer_load_dword v27, s[20:23], 0 offen lds               // 000000005940: E0511000 8005001B
	s_add_u32 m0, 0x400, s51                                   // 000000005948: 807C33FF 00000400
	v_mfma_f32_16x16x32_fp8_fp8 v[132:135], a[14:15], v[182:183], v[132:135]// 000000005950: D3F30084 0E136D0E
	v_mfma_f32_16x16x32_fp8_fp8 v[136:139], a[16:17], v[152:153], v[136:139]// 000000005958: D3F30088 0E233110
	buffer_load_dwordx4 a[64:67], v33, s[92:95], 0 offen       // 000000005960: E05C1000 80974021
	v_mfma_f32_16x16x32_fp8_fp8 v[136:139], a[18:19], v[154:155], v[136:139]// 000000005968: D3F30088 0E233512
	v_mfma_f32_16x16x32_fp8_fp8 v[136:139], a[20:21], v[156:157], v[136:139]// 000000005970: D3F30088 0E233914
	buffer_load_dword v28, s[20:23], 0 offen lds               // 000000005978: E0511000 8005001C
	s_add_u32 m0, 0x500, s51                                   // 000000005980: 807C33FF 00000500
	v_mfma_f32_16x16x32_fp8_fp8 v[136:139], a[22:23], v[158:159], v[136:139]// 000000005988: D3F30088 0E233D16
	v_mfma_f32_16x16x32_fp8_fp8 v[136:139], a[24:25], v[160:161], v[136:139]// 000000005990: D3F30088 0E234118
	buffer_load_dwordx4 a[68:71], v33, s[92:95], 0 offen offset:1024// 000000005998: E05C1400 80974421
	v_mfma_f32_16x16x32_fp8_fp8 v[136:139], a[26:27], v[162:163], v[136:139]// 0000000059A0: D3F30088 0E23451A
	v_mfma_f32_16x16x32_fp8_fp8 v[136:139], a[28:29], v[164:165], v[136:139]// 0000000059A8: D3F30088 0E23491C
	buffer_load_dword v29, s[20:23], 0 offen lds               // 0000000059B0: E0511000 8005001D
	s_add_u32 m0, 0x600, s51                                   // 0000000059B8: 807C33FF 00000600
	v_mfma_f32_16x16x32_fp8_fp8 v[136:139], a[30:31], v[166:167], v[136:139]// 0000000059C0: D3F30088 0E234D1E
	v_mfma_f32_16x16x32_fp8_fp8 v[140:143], a[16:17], v[168:169], v[140:143]// 0000000059C8: D3F3008C 0E335110
	buffer_load_dwordx4 a[72:75], v33, s[92:95], 0 offen offset:2048// 0000000059D0: E05C1800 80974821
	v_mfma_f32_16x16x32_fp8_fp8 v[140:143], a[18:19], v[170:171], v[140:143]// 0000000059D8: D3F3008C 0E335512
	v_mfma_f32_16x16x32_fp8_fp8 v[140:143], a[20:21], v[172:173], v[140:143]// 0000000059E0: D3F3008C 0E335914
	buffer_load_dword v30, s[20:23], 0 offen lds               // 0000000059E8: E0511000 8005001E
	s_add_u32 m0, 0x700, s51                                   // 0000000059F0: 807C33FF 00000700
	v_mfma_f32_16x16x32_fp8_fp8 v[140:143], a[22:23], v[174:175], v[140:143]// 0000000059F8: D3F3008C 0E335D16
	v_mfma_f32_16x16x32_fp8_fp8 v[140:143], a[24:25], v[176:177], v[140:143]// 000000005A00: D3F3008C 0E336118
	buffer_load_dwordx4 a[76:79], v33, s[92:95], 0 offen offset:3072// 000000005A08: E05C1C00 80974C21
	v_mfma_f32_16x16x32_fp8_fp8 v[140:143], a[26:27], v[178:179], v[140:143]// 000000005A10: D3F3008C 0E33651A
	v_mfma_f32_16x16x32_fp8_fp8 v[140:143], a[28:29], v[180:181], v[140:143]// 000000005A18: D3F3008C 0E33691C
	buffer_load_dword v31, s[20:23], 0 offen lds               // 000000005A20: E0511000 8005001F
	s_add_u32 m0, 0, s50                                       // 000000005A28: 807C3280
	v_mfma_f32_16x16x32_fp8_fp8 v[140:143], a[30:31], v[182:183], v[140:143]// 000000005A2C: D3F3008C 0E336D1E
	s_waitcnt vmcnt(16)                                        // 000000005A34: BF8C4F70
	v_mfma_f32_16x16x32_fp8_fp8 v[144:147], a[32:33], v[152:153], v[144:147]// 000000005A38: D3F30090 0E433120
	buffer_load_dwordx4 a[80:83], v34, s[92:95], 0 offen       // 000000005A40: E05C1000 80975022
	v_mfma_f32_16x16x32_fp8_fp8 v[144:147], a[34:35], v[154:155], v[144:147]// 000000005A48: D3F30090 0E433522
	v_mfma_f32_16x16x32_fp8_fp8 v[144:147], a[36:37], v[156:157], v[144:147]// 000000005A50: D3F30090 0E433924
	v_mfma_f32_16x16x32_fp8_fp8 v[144:147], a[38:39], v[158:159], v[144:147]// 000000005A58: D3F30090 0E433D26
	v_mfma_f32_16x16x32_fp8_fp8 v[144:147], a[40:41], v[160:161], v[144:147]// 000000005A60: D3F30090 0E434128
	buffer_load_dwordx4 a[84:87], v34, s[92:95], 0 offen offset:1024// 000000005A68: E05C1400 80975422
	v_mfma_f32_16x16x32_fp8_fp8 v[144:147], a[42:43], v[162:163], v[144:147]// 000000005A70: D3F30090 0E43452A
	v_mfma_f32_16x16x32_fp8_fp8 v[144:147], a[44:45], v[164:165], v[144:147]// 000000005A78: D3F30090 0E43492C
	v_mfma_f32_16x16x32_fp8_fp8 v[144:147], a[46:47], v[166:167], v[144:147]// 000000005A80: D3F30090 0E434D2E
	v_mfma_f32_16x16x32_fp8_fp8 v[148:151], a[32:33], v[168:169], v[148:151]// 000000005A88: D3F30094 0E535120
	buffer_load_dwordx4 a[88:91], v34, s[92:95], 0 offen offset:2048// 000000005A90: E05C1800 80975822
	v_mfma_f32_16x16x32_fp8_fp8 v[148:151], a[34:35], v[170:171], v[148:151]// 000000005A98: D3F30094 0E535522
	v_mfma_f32_16x16x32_fp8_fp8 v[148:151], a[36:37], v[172:173], v[148:151]// 000000005AA0: D3F30094 0E535924
	v_mfma_f32_16x16x32_fp8_fp8 v[148:151], a[38:39], v[174:175], v[148:151]// 000000005AA8: D3F30094 0E535D26
	v_mfma_f32_16x16x32_fp8_fp8 v[148:151], a[40:41], v[176:177], v[148:151]// 000000005AB0: D3F30094 0E536128
	buffer_load_dwordx4 a[92:95], v34, s[92:95], 0 offen offset:3072// 000000005AB8: E05C1C00 80975C22
	v_mfma_f32_16x16x32_fp8_fp8 v[148:151], a[42:43], v[178:179], v[148:151]// 000000005AC0: D3F30094 0E53652A
	v_mfma_f32_16x16x32_fp8_fp8 v[148:151], a[44:45], v[180:181], v[148:151]// 000000005AC8: D3F30094 0E53692C
	v_mfma_f32_16x16x32_fp8_fp8 v[148:151], a[46:47], v[182:183], v[148:151]// 000000005AD0: D3F30094 0E536D2E
	s_waitcnt vmcnt(4)                                         // 000000005AD8: BF8C0F74
	s_barrier                                                  // 000000005ADC: BF8A0000
	v_mfma_f32_16x16x32_fp8_fp8 v[64:67], a[48:49], v[152:153], v[64:67]// 000000005AE0: D3F30040 0D033130
	buffer_load_dwordx4 a[0:3], v32, s[24:27], 0 offen         // 000000005AE8: E05C1000 80860020
	v_mfma_f32_16x16x32_fp8_fp8 v[64:67], a[50:51], v[154:155], v[64:67]// 000000005AF0: D3F30040 0D033532
	v_mfma_f32_16x16x32_fp8_fp8 v[64:67], a[52:53], v[156:157], v[64:67]// 000000005AF8: D3F30040 0D033934
	v_mfma_f32_16x16x32_fp8_fp8 v[64:67], a[54:55], v[158:159], v[64:67]// 000000005B00: D3F30040 0D033D36
	v_mfma_f32_16x16x32_fp8_fp8 v[64:67], a[56:57], v[160:161], v[64:67]// 000000005B08: D3F30040 0D034138
	buffer_load_dwordx4 a[4:7], v32, s[24:27], 0 offen offset:1024// 000000005B10: E05C1400 80860420
	v_mfma_f32_16x16x32_fp8_fp8 v[64:67], a[58:59], v[162:163], v[64:67]// 000000005B18: D3F30040 0D03453A
	v_mfma_f32_16x16x32_fp8_fp8 v[64:67], a[60:61], v[164:165], v[64:67]// 000000005B20: D3F30040 0D03493C
	v_mfma_f32_16x16x32_fp8_fp8 v[64:67], a[62:63], v[166:167], v[64:67]// 000000005B28: D3F30040 0D034D3E
	v_mfma_f32_16x16x32_fp8_fp8 v[68:71], a[48:49], v[168:169], v[68:71]// 000000005B30: D3F30044 0D135130
	buffer_load_dwordx4 a[8:11], v32, s[24:27], 0 offen offset:2048// 000000005B38: E05C1800 80860820
	v_mfma_f32_16x16x32_fp8_fp8 v[68:71], a[50:51], v[170:171], v[68:71]// 000000005B40: D3F30044 0D135532
	v_mfma_f32_16x16x32_fp8_fp8 v[68:71], a[52:53], v[172:173], v[68:71]// 000000005B48: D3F30044 0D135934
	v_mfma_f32_16x16x32_fp8_fp8 v[68:71], a[54:55], v[174:175], v[68:71]// 000000005B50: D3F30044 0D135D36
	v_mfma_f32_16x16x32_fp8_fp8 v[68:71], a[56:57], v[176:177], v[68:71]// 000000005B58: D3F30044 0D136138
	buffer_load_dwordx4 a[12:15], v32, s[24:27], 0 offen offset:3072// 000000005B60: E05C1C00 80860C20
	v_mfma_f32_16x16x32_fp8_fp8 v[68:71], a[58:59], v[178:179], v[68:71]// 000000005B68: D3F30044 0D13653A
	v_mfma_f32_16x16x32_fp8_fp8 v[68:71], a[60:61], v[180:181], v[68:71]// 000000005B70: D3F30044 0D13693C
	v_mfma_f32_16x16x32_fp8_fp8 v[68:71], a[62:63], v[182:183], v[68:71]// 000000005B78: D3F30044 0D136D3E
	v_mfma_f32_16x16x32_fp8_fp8 v[72:75], a[64:65], v[152:153], v[72:75]// 000000005B80: D3F30048 0D233140
	buffer_load_dwordx4 a[16:19], v33, s[24:27], 0 offen       // 000000005B88: E05C1000 80861021
	v_mfma_f32_16x16x32_fp8_fp8 v[72:75], a[66:67], v[154:155], v[72:75]// 000000005B90: D3F30048 0D233542
	v_mfma_f32_16x16x32_fp8_fp8 v[72:75], a[68:69], v[156:157], v[72:75]// 000000005B98: D3F30048 0D233944
	ds_read_b128 v[184:187], v2 offset:8320                    // 000000005BA0: D9FE2080 B8000002
	v_mfma_f32_16x16x32_fp8_fp8 v[72:75], a[70:71], v[158:159], v[72:75]// 000000005BA8: D3F30048 0D233D46
	v_mfma_f32_16x16x32_fp8_fp8 v[72:75], a[72:73], v[160:161], v[72:75]// 000000005BB0: D3F30048 0D234148
	buffer_load_dwordx4 a[20:23], v33, s[24:27], 0 offen offset:1024// 000000005BB8: E05C1400 80861421
	v_mfma_f32_16x16x32_fp8_fp8 v[72:75], a[74:75], v[162:163], v[72:75]// 000000005BC0: D3F30048 0D23454A
	v_mfma_f32_16x16x32_fp8_fp8 v[72:75], a[76:77], v[164:165], v[72:75]// 000000005BC8: D3F30048 0D23494C
	ds_read_b128 v[188:191], v2 offset:8384                    // 000000005BD0: D9FE20C0 BC000002
	v_mfma_f32_16x16x32_fp8_fp8 v[72:75], a[78:79], v[166:167], v[72:75]// 000000005BD8: D3F30048 0D234D4E
	v_mfma_f32_16x16x32_fp8_fp8 v[76:79], a[64:65], v[168:169], v[76:79]// 000000005BE0: D3F3004C 0D335140
	buffer_load_dwordx4 a[24:27], v33, s[24:27], 0 offen offset:2048// 000000005BE8: E05C1800 80861821
	v_mfma_f32_16x16x32_fp8_fp8 v[76:79], a[66:67], v[170:171], v[76:79]// 000000005BF0: D3F3004C 0D335542
	v_mfma_f32_16x16x32_fp8_fp8 v[76:79], a[68:69], v[172:173], v[76:79]// 000000005BF8: D3F3004C 0D335944
	ds_read_b128 v[192:195], v2 offset:8448                    // 000000005C00: D9FE2100 C0000002
	v_mfma_f32_16x16x32_fp8_fp8 v[76:79], a[70:71], v[174:175], v[76:79]// 000000005C08: D3F3004C 0D335D46
	v_mfma_f32_16x16x32_fp8_fp8 v[76:79], a[72:73], v[176:177], v[76:79]// 000000005C10: D3F3004C 0D336148
	buffer_load_dwordx4 a[28:31], v33, s[24:27], 0 offen offset:3072// 000000005C18: E05C1C00 80861C21
	v_mfma_f32_16x16x32_fp8_fp8 v[76:79], a[74:75], v[178:179], v[76:79]// 000000005C20: D3F3004C 0D33654A
	v_mfma_f32_16x16x32_fp8_fp8 v[76:79], a[76:77], v[180:181], v[76:79]// 000000005C28: D3F3004C 0D33694C
	ds_read_b128 v[196:199], v2 offset:8512                    // 000000005C30: D9FE2140 C4000002
	v_mfma_f32_16x16x32_fp8_fp8 v[76:79], a[78:79], v[182:183], v[76:79]// 000000005C38: D3F3004C 0D336D4E
	s_waitcnt vmcnt(8)                                         // 000000005C40: BF8C0F78
	v_mfma_f32_16x16x32_fp8_fp8 v[80:83], a[80:81], v[152:153], v[80:83]// 000000005C44: D3F30050 0D433150
	buffer_load_dwordx4 a[32:35], v34, s[24:27], 0 offen       // 000000005C4C: E05C1000 80862022
	v_mfma_f32_16x16x32_fp8_fp8 v[80:83], a[82:83], v[154:155], v[80:83]// 000000005C54: D3F30050 0D433552
	v_mfma_f32_16x16x32_fp8_fp8 v[80:83], a[84:85], v[156:157], v[80:83]// 000000005C5C: D3F30050 0D433954
	ds_read_b128 v[200:203], v2 offset:9344                    // 000000005C64: D9FE2480 C8000002
	v_mfma_f32_16x16x32_fp8_fp8 v[80:83], a[86:87], v[158:159], v[80:83]// 000000005C6C: D3F30050 0D433D56
	v_mfma_f32_16x16x32_fp8_fp8 v[80:83], a[88:89], v[160:161], v[80:83]// 000000005C74: D3F30050 0D434158
	buffer_load_dwordx4 a[36:39], v34, s[24:27], 0 offen offset:1024// 000000005C7C: E05C1400 80862422
	v_mfma_f32_16x16x32_fp8_fp8 v[80:83], a[90:91], v[162:163], v[80:83]// 000000005C84: D3F30050 0D43455A
	v_mfma_f32_16x16x32_fp8_fp8 v[80:83], a[92:93], v[164:165], v[80:83]// 000000005C8C: D3F30050 0D43495C
	ds_read_b128 v[204:207], v2 offset:9408                    // 000000005C94: D9FE24C0 CC000002
	v_mfma_f32_16x16x32_fp8_fp8 v[80:83], a[94:95], v[166:167], v[80:83]// 000000005C9C: D3F30050 0D434D5E
	v_mfma_f32_16x16x32_fp8_fp8 v[84:87], a[80:81], v[168:169], v[84:87]// 000000005CA4: D3F30054 0D535150
	buffer_load_dwordx4 a[40:43], v34, s[24:27], 0 offen offset:2048// 000000005CAC: E05C1800 80862822
	v_mfma_f32_16x16x32_fp8_fp8 v[84:87], a[82:83], v[170:171], v[84:87]// 000000005CB4: D3F30054 0D535552
	v_mfma_f32_16x16x32_fp8_fp8 v[84:87], a[84:85], v[172:173], v[84:87]// 000000005CBC: D3F30054 0D535954
	ds_read_b128 v[208:211], v2 offset:9472                    // 000000005CC4: D9FE2500 D0000002
	v_mfma_f32_16x16x32_fp8_fp8 v[84:87], a[86:87], v[174:175], v[84:87]// 000000005CCC: D3F30054 0D535D56
	v_mfma_f32_16x16x32_fp8_fp8 v[84:87], a[88:89], v[176:177], v[84:87]// 000000005CD4: D3F30054 0D536158
	buffer_load_dwordx4 a[44:47], v34, s[24:27], 0 offen offset:3072// 000000005CDC: E05C1C00 80862C22
	v_mfma_f32_16x16x32_fp8_fp8 v[84:87], a[90:91], v[178:179], v[84:87]// 000000005CE4: D3F30054 0D53655A
	v_mfma_f32_16x16x32_fp8_fp8 v[84:87], a[92:93], v[180:181], v[84:87]// 000000005CEC: D3F30054 0D53695C
	ds_read_b128 v[212:215], v2 offset:9536                    // 000000005CF4: D9FE2540 D4000002
	v_mfma_f32_16x16x32_fp8_fp8 v[84:87], a[94:95], v[182:183], v[84:87]// 000000005CFC: D3F30054 0D536D5E
	s_add_u32 s60, 0x200, s80                                  // 000000005D04: 803C50FF 00000200
	s_cmp_lt_u32 s60, s81                                      // 000000005D0C: BF0A513C
	s_cselect_b32 s57, s57, 0                                  // 000000005D10: 85398039
	s_add_u32 s60, 0x200, s80                                  // 000000005D14: 803C50FF 00000200
	s_cmp_lt_u32 s60, s81                                      // 000000005D1C: BF0A513C
	s_cselect_b32 s58, s58, 0                                  // 000000005D20: 853A803A
	s_add_u32 s20, s57, s20                                    // 000000005D24: 80141439
	s_addc_u32 s21, 0, s21                                     // 000000005D28: 82151580
	s_add_u32 s24, s58, s24                                    // 000000005D2C: 8018183A
	s_addc_u32 s25, 0, s25                                     // 000000005D30: 82191980
	s_add_u32 s92, s90, s92                                    // 000000005D34: 805C5C5A
	s_addc_u32 s93, 0, s93                                     // 000000005D38: 825D5D80
	s_addk_i32 s80, 0x100                                      // 000000005D3C: B7500100
	s_cmp_lt_i32 s80, s81                                      // 000000005D40: BF045150
	s_cbranch_scc0 label_0D09                                  // 000000005D44: BF840137
	s_waitcnt vmcnt(4) lgkmcnt(0)                              // 000000005D48: BF8C0074
	s_barrier                                                  // 000000005D4C: BF8A0000
	v_mfma_f32_16x16x32_fp8_fp8 v[128:131], a[0:1], v[184:185], v[128:131]// 000000005D50: D3F30080 0E037100
	buffer_load_dwordx4 a[48:51], v32, s[92:95], 0 offen       // 000000005D58: E05C1000 80973020
	v_mfma_f32_16x16x32_fp8_fp8 v[128:131], a[2:3], v[186:187], v[128:131]// 000000005D60: D3F30080 0E037502
	v_mfma_f32_16x16x32_fp8_fp8 v[128:131], a[4:5], v[188:189], v[128:131]// 000000005D68: D3F30080 0E037904
	buffer_load_dword v24, s[20:23], 0 offen lds               // 000000005D70: E0511000 80050018
	s_add_u32 m0, 0x100, s50                                   // 000000005D78: 807C32FF 00000100
	v_mfma_f32_16x16x32_fp8_fp8 v[128:131], a[6:7], v[190:191], v[128:131]// 000000005D80: D3F30080 0E037D06
	v_mfma_f32_16x16x32_fp8_fp8 v[128:131], a[8:9], v[192:193], v[128:131]// 000000005D88: D3F30080 0E038108
	buffer_load_dwordx4 a[52:55], v32, s[92:95], 0 offen offset:1024// 000000005D90: E05C1400 80973420
	v_mfma_f32_16x16x32_fp8_fp8 v[128:131], a[10:11], v[194:195], v[128:131]// 000000005D98: D3F30080 0E03850A
	v_mfma_f32_16x16x32_fp8_fp8 v[128:131], a[12:13], v[196:197], v[128:131]// 000000005DA0: D3F30080 0E03890C
	buffer_load_dword v25, s[20:23], 0 offen lds               // 000000005DA8: E0511000 80050019
	s_add_u32 m0, 0x200, s50                                   // 000000005DB0: 807C32FF 00000200
	v_mfma_f32_16x16x32_fp8_fp8 v[128:131], a[14:15], v[198:199], v[128:131]// 000000005DB8: D3F30080 0E038D0E
	v_mfma_f32_16x16x32_fp8_fp8 v[132:135], a[0:1], v[200:201], v[132:135]// 000000005DC0: D3F30084 0E139100
	buffer_load_dwordx4 a[56:59], v32, s[92:95], 0 offen offset:2048// 000000005DC8: E05C1800 80973820
	v_mfma_f32_16x16x32_fp8_fp8 v[132:135], a[2:3], v[202:203], v[132:135]// 000000005DD0: D3F30084 0E139502
	v_mfma_f32_16x16x32_fp8_fp8 v[132:135], a[4:5], v[204:205], v[132:135]// 000000005DD8: D3F30084 0E139904
	buffer_load_dword v26, s[20:23], 0 offen lds               // 000000005DE0: E0511000 8005001A
	s_add_u32 m0, 0x300, s50                                   // 000000005DE8: 807C32FF 00000300
	v_mfma_f32_16x16x32_fp8_fp8 v[132:135], a[6:7], v[206:207], v[132:135]// 000000005DF0: D3F30084 0E139D06
	v_mfma_f32_16x16x32_fp8_fp8 v[132:135], a[8:9], v[208:209], v[132:135]// 000000005DF8: D3F30084 0E13A108
	buffer_load_dwordx4 a[60:63], v32, s[92:95], 0 offen offset:3072// 000000005E00: E05C1C00 80973C20
	v_mfma_f32_16x16x32_fp8_fp8 v[132:135], a[10:11], v[210:211], v[132:135]// 000000005E08: D3F30084 0E13A50A
	v_mfma_f32_16x16x32_fp8_fp8 v[132:135], a[12:13], v[212:213], v[132:135]// 000000005E10: D3F30084 0E13A90C
	buffer_load_dword v27, s[20:23], 0 offen lds               // 000000005E18: E0511000 8005001B
	s_add_u32 m0, 0x400, s50                                   // 000000005E20: 807C32FF 00000400
	v_mfma_f32_16x16x32_fp8_fp8 v[132:135], a[14:15], v[214:215], v[132:135]// 000000005E28: D3F30084 0E13AD0E
	v_mfma_f32_16x16x32_fp8_fp8 v[136:139], a[16:17], v[184:185], v[136:139]// 000000005E30: D3F30088 0E237110
	buffer_load_dwordx4 a[64:67], v33, s[92:95], 0 offen       // 000000005E38: E05C1000 80974021
	v_mfma_f32_16x16x32_fp8_fp8 v[136:139], a[18:19], v[186:187], v[136:139]// 000000005E40: D3F30088 0E237512
	v_mfma_f32_16x16x32_fp8_fp8 v[136:139], a[20:21], v[188:189], v[136:139]// 000000005E48: D3F30088 0E237914
	buffer_load_dword v28, s[20:23], 0 offen lds               // 000000005E50: E0511000 8005001C
	s_add_u32 m0, 0x500, s50                                   // 000000005E58: 807C32FF 00000500
	v_mfma_f32_16x16x32_fp8_fp8 v[136:139], a[22:23], v[190:191], v[136:139]// 000000005E60: D3F30088 0E237D16
	v_mfma_f32_16x16x32_fp8_fp8 v[136:139], a[24:25], v[192:193], v[136:139]// 000000005E68: D3F30088 0E238118
	buffer_load_dwordx4 a[68:71], v33, s[92:95], 0 offen offset:1024// 000000005E70: E05C1400 80974421
	v_mfma_f32_16x16x32_fp8_fp8 v[136:139], a[26:27], v[194:195], v[136:139]// 000000005E78: D3F30088 0E23851A
	v_mfma_f32_16x16x32_fp8_fp8 v[136:139], a[28:29], v[196:197], v[136:139]// 000000005E80: D3F30088 0E23891C
	buffer_load_dword v29, s[20:23], 0 offen lds               // 000000005E88: E0511000 8005001D
	s_add_u32 m0, 0x600, s50                                   // 000000005E90: 807C32FF 00000600
	v_mfma_f32_16x16x32_fp8_fp8 v[136:139], a[30:31], v[198:199], v[136:139]// 000000005E98: D3F30088 0E238D1E
	v_mfma_f32_16x16x32_fp8_fp8 v[140:143], a[16:17], v[200:201], v[140:143]// 000000005EA0: D3F3008C 0E339110
	buffer_load_dwordx4 a[72:75], v33, s[92:95], 0 offen offset:2048// 000000005EA8: E05C1800 80974821
	v_mfma_f32_16x16x32_fp8_fp8 v[140:143], a[18:19], v[202:203], v[140:143]// 000000005EB0: D3F3008C 0E339512
	v_mfma_f32_16x16x32_fp8_fp8 v[140:143], a[20:21], v[204:205], v[140:143]// 000000005EB8: D3F3008C 0E339914
	buffer_load_dword v30, s[20:23], 0 offen lds               // 000000005EC0: E0511000 8005001E
	s_add_u32 m0, 0x700, s50                                   // 000000005EC8: 807C32FF 00000700
	v_mfma_f32_16x16x32_fp8_fp8 v[140:143], a[22:23], v[206:207], v[140:143]// 000000005ED0: D3F3008C 0E339D16
	v_mfma_f32_16x16x32_fp8_fp8 v[140:143], a[24:25], v[208:209], v[140:143]// 000000005ED8: D3F3008C 0E33A118
	buffer_load_dwordx4 a[76:79], v33, s[92:95], 0 offen offset:3072// 000000005EE0: E05C1C00 80974C21
	v_mfma_f32_16x16x32_fp8_fp8 v[140:143], a[26:27], v[210:211], v[140:143]// 000000005EE8: D3F3008C 0E33A51A
	v_mfma_f32_16x16x32_fp8_fp8 v[140:143], a[28:29], v[212:213], v[140:143]// 000000005EF0: D3F3008C 0E33A91C
	buffer_load_dword v31, s[20:23], 0 offen lds               // 000000005EF8: E0511000 8005001F
	s_add_u32 m0, 0, s51                                       // 000000005F00: 807C3380
	v_mfma_f32_16x16x32_fp8_fp8 v[140:143], a[30:31], v[214:215], v[140:143]// 000000005F04: D3F3008C 0E33AD1E
	s_waitcnt vmcnt(16)                                        // 000000005F0C: BF8C4F70
	v_mfma_f32_16x16x32_fp8_fp8 v[144:147], a[32:33], v[184:185], v[144:147]// 000000005F10: D3F30090 0E437120
	buffer_load_dwordx4 a[80:83], v34, s[92:95], 0 offen       // 000000005F18: E05C1000 80975022
	v_mfma_f32_16x16x32_fp8_fp8 v[144:147], a[34:35], v[186:187], v[144:147]// 000000005F20: D3F30090 0E437522
	v_mfma_f32_16x16x32_fp8_fp8 v[144:147], a[36:37], v[188:189], v[144:147]// 000000005F28: D3F30090 0E437924
	v_mfma_f32_16x16x32_fp8_fp8 v[144:147], a[38:39], v[190:191], v[144:147]// 000000005F30: D3F30090 0E437D26
	v_mfma_f32_16x16x32_fp8_fp8 v[144:147], a[40:41], v[192:193], v[144:147]// 000000005F38: D3F30090 0E438128
	buffer_load_dwordx4 a[84:87], v34, s[92:95], 0 offen offset:1024// 000000005F40: E05C1400 80975422
	v_mfma_f32_16x16x32_fp8_fp8 v[144:147], a[42:43], v[194:195], v[144:147]// 000000005F48: D3F30090 0E43852A
	v_mfma_f32_16x16x32_fp8_fp8 v[144:147], a[44:45], v[196:197], v[144:147]// 000000005F50: D3F30090 0E43892C
	v_mfma_f32_16x16x32_fp8_fp8 v[144:147], a[46:47], v[198:199], v[144:147]// 000000005F58: D3F30090 0E438D2E
	v_mfma_f32_16x16x32_fp8_fp8 v[148:151], a[32:33], v[200:201], v[148:151]// 000000005F60: D3F30094 0E539120
	buffer_load_dwordx4 a[88:91], v34, s[92:95], 0 offen offset:2048// 000000005F68: E05C1800 80975822
	v_mfma_f32_16x16x32_fp8_fp8 v[148:151], a[34:35], v[202:203], v[148:151]// 000000005F70: D3F30094 0E539522
	v_mfma_f32_16x16x32_fp8_fp8 v[148:151], a[36:37], v[204:205], v[148:151]// 000000005F78: D3F30094 0E539924
	v_mfma_f32_16x16x32_fp8_fp8 v[148:151], a[38:39], v[206:207], v[148:151]// 000000005F80: D3F30094 0E539D26
	v_mfma_f32_16x16x32_fp8_fp8 v[148:151], a[40:41], v[208:209], v[148:151]// 000000005F88: D3F30094 0E53A128
	buffer_load_dwordx4 a[92:95], v34, s[92:95], 0 offen offset:3072// 000000005F90: E05C1C00 80975C22
	v_mfma_f32_16x16x32_fp8_fp8 v[148:151], a[42:43], v[210:211], v[148:151]// 000000005F98: D3F30094 0E53A52A
	v_mfma_f32_16x16x32_fp8_fp8 v[148:151], a[44:45], v[212:213], v[148:151]// 000000005FA0: D3F30094 0E53A92C
	v_mfma_f32_16x16x32_fp8_fp8 v[148:151], a[46:47], v[214:215], v[148:151]// 000000005FA8: D3F30094 0E53AD2E
	s_waitcnt vmcnt(4)                                         // 000000005FB0: BF8C0F74
	s_barrier                                                  // 000000005FB4: BF8A0000
	v_mfma_f32_16x16x32_fp8_fp8 v[64:67], a[48:49], v[184:185], v[64:67]// 000000005FB8: D3F30040 0D037130
	buffer_load_dwordx4 a[0:3], v32, s[24:27], 0 offen         // 000000005FC0: E05C1000 80860020
	v_mfma_f32_16x16x32_fp8_fp8 v[64:67], a[50:51], v[186:187], v[64:67]// 000000005FC8: D3F30040 0D037532
	v_mfma_f32_16x16x32_fp8_fp8 v[64:67], a[52:53], v[188:189], v[64:67]// 000000005FD0: D3F30040 0D037934
	v_mfma_f32_16x16x32_fp8_fp8 v[64:67], a[54:55], v[190:191], v[64:67]// 000000005FD8: D3F30040 0D037D36
	v_mfma_f32_16x16x32_fp8_fp8 v[64:67], a[56:57], v[192:193], v[64:67]// 000000005FE0: D3F30040 0D038138
	buffer_load_dwordx4 a[4:7], v32, s[24:27], 0 offen offset:1024// 000000005FE8: E05C1400 80860420
	v_mfma_f32_16x16x32_fp8_fp8 v[64:67], a[58:59], v[194:195], v[64:67]// 000000005FF0: D3F30040 0D03853A
	v_mfma_f32_16x16x32_fp8_fp8 v[64:67], a[60:61], v[196:197], v[64:67]// 000000005FF8: D3F30040 0D03893C
	v_mfma_f32_16x16x32_fp8_fp8 v[64:67], a[62:63], v[198:199], v[64:67]// 000000006000: D3F30040 0D038D3E
	v_mfma_f32_16x16x32_fp8_fp8 v[68:71], a[48:49], v[200:201], v[68:71]// 000000006008: D3F30044 0D139130
	buffer_load_dwordx4 a[8:11], v32, s[24:27], 0 offen offset:2048// 000000006010: E05C1800 80860820
	v_mfma_f32_16x16x32_fp8_fp8 v[68:71], a[50:51], v[202:203], v[68:71]// 000000006018: D3F30044 0D139532
	v_mfma_f32_16x16x32_fp8_fp8 v[68:71], a[52:53], v[204:205], v[68:71]// 000000006020: D3F30044 0D139934
	v_mfma_f32_16x16x32_fp8_fp8 v[68:71], a[54:55], v[206:207], v[68:71]// 000000006028: D3F30044 0D139D36
	v_mfma_f32_16x16x32_fp8_fp8 v[68:71], a[56:57], v[208:209], v[68:71]// 000000006030: D3F30044 0D13A138
	buffer_load_dwordx4 a[12:15], v32, s[24:27], 0 offen offset:3072// 000000006038: E05C1C00 80860C20
	v_mfma_f32_16x16x32_fp8_fp8 v[68:71], a[58:59], v[210:211], v[68:71]// 000000006040: D3F30044 0D13A53A
	v_mfma_f32_16x16x32_fp8_fp8 v[68:71], a[60:61], v[212:213], v[68:71]// 000000006048: D3F30044 0D13A93C
	v_mfma_f32_16x16x32_fp8_fp8 v[68:71], a[62:63], v[214:215], v[68:71]// 000000006050: D3F30044 0D13AD3E
	v_mfma_f32_16x16x32_fp8_fp8 v[72:75], a[64:65], v[184:185], v[72:75]// 000000006058: D3F30048 0D237140
	buffer_load_dwordx4 a[16:19], v33, s[24:27], 0 offen       // 000000006060: E05C1000 80861021
	v_mfma_f32_16x16x32_fp8_fp8 v[72:75], a[66:67], v[186:187], v[72:75]// 000000006068: D3F30048 0D237542
	v_mfma_f32_16x16x32_fp8_fp8 v[72:75], a[68:69], v[188:189], v[72:75]// 000000006070: D3F30048 0D237944
	ds_read_b128 v[152:155], v2                                // 000000006078: D9FE0000 98000002
	v_mfma_f32_16x16x32_fp8_fp8 v[72:75], a[70:71], v[190:191], v[72:75]// 000000006080: D3F30048 0D237D46
	v_mfma_f32_16x16x32_fp8_fp8 v[72:75], a[72:73], v[192:193], v[72:75]// 000000006088: D3F30048 0D238148
	buffer_load_dwordx4 a[20:23], v33, s[24:27], 0 offen offset:1024// 000000006090: E05C1400 80861421
	v_mfma_f32_16x16x32_fp8_fp8 v[72:75], a[74:75], v[194:195], v[72:75]// 000000006098: D3F30048 0D23854A
	v_mfma_f32_16x16x32_fp8_fp8 v[72:75], a[76:77], v[196:197], v[72:75]// 0000000060A0: D3F30048 0D23894C
	ds_read_b128 v[156:159], v2 offset:64                      // 0000000060A8: D9FE0040 9C000002
	v_mfma_f32_16x16x32_fp8_fp8 v[72:75], a[78:79], v[198:199], v[72:75]// 0000000060B0: D3F30048 0D238D4E
	v_mfma_f32_16x16x32_fp8_fp8 v[76:79], a[64:65], v[200:201], v[76:79]// 0000000060B8: D3F3004C 0D339140
	buffer_load_dwordx4 a[24:27], v33, s[24:27], 0 offen offset:2048// 0000000060C0: E05C1800 80861821
	v_mfma_f32_16x16x32_fp8_fp8 v[76:79], a[66:67], v[202:203], v[76:79]// 0000000060C8: D3F3004C 0D339542
	v_mfma_f32_16x16x32_fp8_fp8 v[76:79], a[68:69], v[204:205], v[76:79]// 0000000060D0: D3F3004C 0D339944
	ds_read_b128 v[160:163], v2 offset:128                     // 0000000060D8: D9FE0080 A0000002
	v_mfma_f32_16x16x32_fp8_fp8 v[76:79], a[70:71], v[206:207], v[76:79]// 0000000060E0: D3F3004C 0D339D46
	v_mfma_f32_16x16x32_fp8_fp8 v[76:79], a[72:73], v[208:209], v[76:79]// 0000000060E8: D3F3004C 0D33A148
	buffer_load_dwordx4 a[28:31], v33, s[24:27], 0 offen offset:3072// 0000000060F0: E05C1C00 80861C21
	v_mfma_f32_16x16x32_fp8_fp8 v[76:79], a[74:75], v[210:211], v[76:79]// 0000000060F8: D3F3004C 0D33A54A
	v_mfma_f32_16x16x32_fp8_fp8 v[76:79], a[76:77], v[212:213], v[76:79]// 000000006100: D3F3004C 0D33A94C
	ds_read_b128 v[164:167], v2 offset:192                     // 000000006108: D9FE00C0 A4000002
	v_mfma_f32_16x16x32_fp8_fp8 v[76:79], a[78:79], v[214:215], v[76:79]// 000000006110: D3F3004C 0D33AD4E
	s_waitcnt vmcnt(8)                                         // 000000006118: BF8C0F78
	v_mfma_f32_16x16x32_fp8_fp8 v[80:83], a[80:81], v[184:185], v[80:83]// 00000000611C: D3F30050 0D437150
	buffer_load_dwordx4 a[32:35], v34, s[24:27], 0 offen       // 000000006124: E05C1000 80862022
	v_mfma_f32_16x16x32_fp8_fp8 v[80:83], a[82:83], v[186:187], v[80:83]// 00000000612C: D3F30050 0D437552
	v_mfma_f32_16x16x32_fp8_fp8 v[80:83], a[84:85], v[188:189], v[80:83]// 000000006134: D3F30050 0D437954
	ds_read_b128 v[168:171], v2 offset:1024                    // 00000000613C: D9FE0400 A8000002
	v_mfma_f32_16x16x32_fp8_fp8 v[80:83], a[86:87], v[190:191], v[80:83]// 000000006144: D3F30050 0D437D56
	v_mfma_f32_16x16x32_fp8_fp8 v[80:83], a[88:89], v[192:193], v[80:83]// 00000000614C: D3F30050 0D438158
	buffer_load_dwordx4 a[36:39], v34, s[24:27], 0 offen offset:1024// 000000006154: E05C1400 80862422
	v_mfma_f32_16x16x32_fp8_fp8 v[80:83], a[90:91], v[194:195], v[80:83]// 00000000615C: D3F30050 0D43855A
	v_mfma_f32_16x16x32_fp8_fp8 v[80:83], a[92:93], v[196:197], v[80:83]// 000000006164: D3F30050 0D43895C
	ds_read_b128 v[172:175], v2 offset:1088                    // 00000000616C: D9FE0440 AC000002
	v_mfma_f32_16x16x32_fp8_fp8 v[80:83], a[94:95], v[198:199], v[80:83]// 000000006174: D3F30050 0D438D5E
	v_mfma_f32_16x16x32_fp8_fp8 v[84:87], a[80:81], v[200:201], v[84:87]// 00000000617C: D3F30054 0D539150
	buffer_load_dwordx4 a[40:43], v34, s[24:27], 0 offen offset:2048// 000000006184: E05C1800 80862822
	v_mfma_f32_16x16x32_fp8_fp8 v[84:87], a[82:83], v[202:203], v[84:87]// 00000000618C: D3F30054 0D539552
	v_mfma_f32_16x16x32_fp8_fp8 v[84:87], a[84:85], v[204:205], v[84:87]// 000000006194: D3F30054 0D539954
	ds_read_b128 v[176:179], v2 offset:1152                    // 00000000619C: D9FE0480 B0000002
	v_mfma_f32_16x16x32_fp8_fp8 v[84:87], a[86:87], v[206:207], v[84:87]// 0000000061A4: D3F30054 0D539D56
	v_mfma_f32_16x16x32_fp8_fp8 v[84:87], a[88:89], v[208:209], v[84:87]// 0000000061AC: D3F30054 0D53A158
	buffer_load_dwordx4 a[44:47], v34, s[24:27], 0 offen offset:3072// 0000000061B4: E05C1C00 80862C22
	v_mfma_f32_16x16x32_fp8_fp8 v[84:87], a[90:91], v[210:211], v[84:87]// 0000000061BC: D3F30054 0D53A55A
	v_mfma_f32_16x16x32_fp8_fp8 v[84:87], a[92:93], v[212:213], v[84:87]// 0000000061C4: D3F30054 0D53A95C
	ds_read_b128 v[180:183], v2 offset:1216                    // 0000000061CC: D9FE04C0 B4000002
	v_mfma_f32_16x16x32_fp8_fp8 v[84:87], a[94:95], v[214:215], v[84:87]// 0000000061D4: D3F30054 0D53AD5E
	s_add_u32 s60, 0x200, s80                                  // 0000000061DC: 803C50FF 00000200
	s_cmp_lt_u32 s60, s81                                      // 0000000061E4: BF0A513C
	s_cselect_b32 s57, s57, 0                                  // 0000000061E8: 85398039
	s_add_u32 s60, 0x200, s80                                  // 0000000061EC: 803C50FF 00000200
	s_cmp_lt_u32 s60, s81                                      // 0000000061F4: BF0A513C
	s_cselect_b32 s58, s58, 0                                  // 0000000061F8: 853A803A
	s_add_u32 s20, s57, s20                                    // 0000000061FC: 80141439
	s_addc_u32 s21, 0, s21                                     // 000000006200: 82151580
	s_add_u32 s24, s58, s24                                    // 000000006204: 8018183A
	s_addc_u32 s25, 0, s25                                     // 000000006208: 82191980
	s_add_u32 s92, s90, s92                                    // 00000000620C: 805C5C5A
	s_addc_u32 s93, 0, s93                                     // 000000006210: 825D5D80
	s_addk_i32 s80, 0x100                                      // 000000006214: B7500100
	s_cmp_lt_i32 s80, s81                                      // 000000006218: BF045150
	s_cbranch_scc0 label_0D09                                  // 00000000621C: BF840001
	s_branch label_0A9C                                        // 000000006220: BF82FD93

0000000000006224 <label_0D09>:
	s_mov_b32 s20, 0                                           // 000000006224: BE940080
	s_cmp_lt_u32 s89, s66                                      // 000000006228: BF0A4259
	s_cselect_b32 s60, 0, 1                                    // 00000000622C: 853C8180
	s_lshl1_add_u32 s20, s20, s60                              // 000000006230: 97143C14
	s_cmp_lt_u32 s88, s66                                      // 000000006234: BF0A4258
	s_cselect_b32 s60, 0, 1                                    // 000000006238: 853C8180
	s_lshl1_add_u32 s20, s20, s60                              // 00000000623C: 97143C14
	s_cmp_lt_u32 s87, s66                                      // 000000006240: BF0A4257
	s_cselect_b32 s60, 0, 1                                    // 000000006244: 853C8180
	s_lshl1_add_u32 s20, s20, s60                              // 000000006248: 97143C14
	s_cmp_lt_u32 s86, s66                                      // 00000000624C: BF0A4256
	s_cselect_b32 s60, 0, 1                                    // 000000006250: 853C8180
	s_lshl1_add_u32 s20, s20, s60                              // 000000006254: 97143C14
	s_cmp_lt_u32 s85, s66                                      // 000000006258: BF0A4255
	s_cselect_b32 s60, 0, 1                                    // 00000000625C: 853C8180
	s_lshl1_add_u32 s20, s20, s60                              // 000000006260: 97143C14
	s_cmp_lt_u32 s84, s66                                      // 000000006264: BF0A4254
	s_cselect_b32 s60, 0, 1                                    // 000000006268: 853C8180
	s_lshl1_add_u32 s20, s20, s60                              // 00000000626C: 97143C14
	s_cmp_lt_u32 s83, s66                                      // 000000006270: BF0A4253
	s_cselect_b32 s60, 0, 1                                    // 000000006274: 853C8180
	s_lshl1_add_u32 s20, s20, s60                              // 000000006278: 97143C14
	s_cmp_lt_u32 s82, s66                                      // 00000000627C: BF0A4252
	s_cselect_b32 s60, 0, 1                                    // 000000006280: 853C8180
	s_lshl1_add_u32 s20, s20, s60                              // 000000006284: 97143C14
	v_mul_f32_e32 v128, v13, v128                              // 000000006288: 0B01010D
	v_mul_f32_e32 v129, v13, v129                              // 00000000628C: 0B03030D
	v_mul_f32_e32 v130, v13, v130                              // 000000006290: 0B05050D
	v_mul_f32_e32 v131, v13, v131                              // 000000006294: 0B07070D
	v_mul_f32_dpp v128, v15, v128 row_newbcast:0 row_mask:0xf bank_mask:0xf// 000000006298: 0B0100FA FF01500F
	v_mul_f32_dpp v129, v15, v129 row_newbcast:1 row_mask:0xf bank_mask:0xf// 0000000062A0: 0B0302FA FF01510F
	v_mul_f32_dpp v130, v15, v130 row_newbcast:2 row_mask:0xf bank_mask:0xf// 0000000062A8: 0B0504FA FF01520F
	v_mul_f32_dpp v131, v15, v131 row_newbcast:3 row_mask:0xf bank_mask:0xf// 0000000062B0: 0B0706FA FF01530F
	v_mul_f32_e32 v132, v14, v132                              // 0000000062B8: 0B09090E
	v_mul_f32_e32 v133, v14, v133                              // 0000000062BC: 0B0B0B0E
	v_mul_f32_e32 v134, v14, v134                              // 0000000062C0: 0B0D0D0E
	v_mul_f32_e32 v135, v14, v135                              // 0000000062C4: 0B0F0F0E
	v_mul_f32_dpp v132, v15, v132 row_newbcast:0 row_mask:0xf bank_mask:0xf// 0000000062C8: 0B0908FA FF01500F
	v_mul_f32_dpp v133, v15, v133 row_newbcast:1 row_mask:0xf bank_mask:0xf// 0000000062D0: 0B0B0AFA FF01510F
	v_mul_f32_dpp v134, v15, v134 row_newbcast:2 row_mask:0xf bank_mask:0xf// 0000000062D8: 0B0D0CFA FF01520F
	v_mul_f32_dpp v135, v15, v135 row_newbcast:3 row_mask:0xf bank_mask:0xf// 0000000062E0: 0B0F0EFA FF01530F
	v_mul_f32_e32 v136, v13, v136                              // 0000000062E8: 0B11110D
	v_mul_f32_e32 v137, v13, v137                              // 0000000062EC: 0B13130D
	v_mul_f32_e32 v138, v13, v138                              // 0000000062F0: 0B15150D
	v_mul_f32_e32 v139, v13, v139                              // 0000000062F4: 0B17170D
	v_mul_f32_dpp v136, v15, v136 row_newbcast:4 row_mask:0xf bank_mask:0xf// 0000000062F8: 0B1110FA FF01540F
	v_mul_f32_dpp v137, v15, v137 row_newbcast:5 row_mask:0xf bank_mask:0xf// 000000006300: 0B1312FA FF01550F
	v_mul_f32_dpp v138, v15, v138 row_newbcast:6 row_mask:0xf bank_mask:0xf// 000000006308: 0B1514FA FF01560F
	v_mul_f32_dpp v139, v15, v139 row_newbcast:7 row_mask:0xf bank_mask:0xf// 000000006310: 0B1716FA FF01570F
	v_mul_f32_e32 v140, v14, v140                              // 000000006318: 0B19190E
	v_mul_f32_e32 v141, v14, v141                              // 00000000631C: 0B1B1B0E
	v_mul_f32_e32 v142, v14, v142                              // 000000006320: 0B1D1D0E
	v_mul_f32_e32 v143, v14, v143                              // 000000006324: 0B1F1F0E
	v_mul_f32_dpp v140, v15, v140 row_newbcast:4 row_mask:0xf bank_mask:0xf// 000000006328: 0B1918FA FF01540F
	v_mul_f32_dpp v141, v15, v141 row_newbcast:5 row_mask:0xf bank_mask:0xf// 000000006330: 0B1B1AFA FF01550F
	v_mul_f32_dpp v142, v15, v142 row_newbcast:6 row_mask:0xf bank_mask:0xf// 000000006338: 0B1D1CFA FF01560F
	v_mul_f32_dpp v143, v15, v143 row_newbcast:7 row_mask:0xf bank_mask:0xf// 000000006340: 0B1F1EFA FF01570F
	v_mul_f32_e32 v144, v13, v144                              // 000000006348: 0B21210D
	v_mul_f32_e32 v145, v13, v145                              // 00000000634C: 0B23230D
	v_mul_f32_e32 v146, v13, v146                              // 000000006350: 0B25250D
	v_mul_f32_e32 v147, v13, v147                              // 000000006354: 0B27270D
	v_mul_f32_dpp v144, v15, v144 row_newbcast:8 row_mask:0xf bank_mask:0xf// 000000006358: 0B2120FA FF01580F
	v_mul_f32_dpp v145, v15, v145 row_newbcast:9 row_mask:0xf bank_mask:0xf// 000000006360: 0B2322FA FF01590F
	v_mul_f32_dpp v146, v15, v146 row_newbcast:10 row_mask:0xf bank_mask:0xf// 000000006368: 0B2524FA FF015A0F
	v_mul_f32_dpp v147, v15, v147 row_newbcast:11 row_mask:0xf bank_mask:0xf// 000000006370: 0B2726FA FF015B0F
	v_mul_f32_e32 v148, v14, v148                              // 000000006378: 0B29290E
	v_mul_f32_e32 v149, v14, v149                              // 00000000637C: 0B2B2B0E
	v_mul_f32_e32 v150, v14, v150                              // 000000006380: 0B2D2D0E
	v_mul_f32_e32 v151, v14, v151                              // 000000006384: 0B2F2F0E
	v_mul_f32_dpp v148, v15, v148 row_newbcast:8 row_mask:0xf bank_mask:0xf// 000000006388: 0B2928FA FF01580F
	v_mul_f32_dpp v149, v15, v149 row_newbcast:9 row_mask:0xf bank_mask:0xf// 000000006390: 0B2B2AFA FF01590F
	v_mul_f32_dpp v150, v15, v150 row_newbcast:10 row_mask:0xf bank_mask:0xf// 000000006398: 0B2D2CFA FF015A0F
	v_mul_f32_dpp v151, v15, v151 row_newbcast:11 row_mask:0xf bank_mask:0xf// 0000000063A0: 0B2F2EFA FF015B0F
	v_mul_f32_e32 v64, v13, v64                                // 0000000063A8: 0A80810D
	v_mul_f32_e32 v65, v13, v65                                // 0000000063AC: 0A82830D
	v_mul_f32_e32 v66, v13, v66                                // 0000000063B0: 0A84850D
	v_mul_f32_e32 v67, v13, v67                                // 0000000063B4: 0A86870D
	v_mul_f32_dpp v64, v43, v64 row_newbcast:0 row_mask:0xf bank_mask:0xf// 0000000063B8: 0A8080FA FF01502B
	v_mul_f32_dpp v65, v43, v65 row_newbcast:1 row_mask:0xf bank_mask:0xf// 0000000063C0: 0A8282FA FF01512B
	v_mul_f32_dpp v66, v43, v66 row_newbcast:2 row_mask:0xf bank_mask:0xf// 0000000063C8: 0A8484FA FF01522B
	v_mul_f32_dpp v67, v43, v67 row_newbcast:3 row_mask:0xf bank_mask:0xf// 0000000063D0: 0A8686FA FF01532B
	v_mul_f32_e32 v68, v14, v68                                // 0000000063D8: 0A88890E
	v_mul_f32_e32 v69, v14, v69                                // 0000000063DC: 0A8A8B0E
	v_mul_f32_e32 v70, v14, v70                                // 0000000063E0: 0A8C8D0E
	v_mul_f32_e32 v71, v14, v71                                // 0000000063E4: 0A8E8F0E
	v_mul_f32_dpp v68, v43, v68 row_newbcast:0 row_mask:0xf bank_mask:0xf// 0000000063E8: 0A8888FA FF01502B
	v_mul_f32_dpp v69, v43, v69 row_newbcast:1 row_mask:0xf bank_mask:0xf// 0000000063F0: 0A8A8AFA FF01512B
	v_mul_f32_dpp v70, v43, v70 row_newbcast:2 row_mask:0xf bank_mask:0xf// 0000000063F8: 0A8C8CFA FF01522B
	v_mul_f32_dpp v71, v43, v71 row_newbcast:3 row_mask:0xf bank_mask:0xf// 000000006400: 0A8E8EFA FF01532B
	v_mul_f32_e32 v72, v13, v72                                // 000000006408: 0A90910D
	v_mul_f32_e32 v73, v13, v73                                // 00000000640C: 0A92930D
	v_mul_f32_e32 v74, v13, v74                                // 000000006410: 0A94950D
	v_mul_f32_e32 v75, v13, v75                                // 000000006414: 0A96970D
	v_mul_f32_dpp v72, v43, v72 row_newbcast:4 row_mask:0xf bank_mask:0xf// 000000006418: 0A9090FA FF01542B
	v_mul_f32_dpp v73, v43, v73 row_newbcast:5 row_mask:0xf bank_mask:0xf// 000000006420: 0A9292FA FF01552B
	v_mul_f32_dpp v74, v43, v74 row_newbcast:6 row_mask:0xf bank_mask:0xf// 000000006428: 0A9494FA FF01562B
	v_mul_f32_dpp v75, v43, v75 row_newbcast:7 row_mask:0xf bank_mask:0xf// 000000006430: 0A9696FA FF01572B
	v_mul_f32_e32 v76, v14, v76                                // 000000006438: 0A98990E
	v_mul_f32_e32 v77, v14, v77                                // 00000000643C: 0A9A9B0E
	v_mul_f32_e32 v78, v14, v78                                // 000000006440: 0A9C9D0E
	v_mul_f32_e32 v79, v14, v79                                // 000000006444: 0A9E9F0E
	v_mul_f32_dpp v76, v43, v76 row_newbcast:4 row_mask:0xf bank_mask:0xf// 000000006448: 0A9898FA FF01542B
	v_mul_f32_dpp v77, v43, v77 row_newbcast:5 row_mask:0xf bank_mask:0xf// 000000006450: 0A9A9AFA FF01552B
	v_mul_f32_dpp v78, v43, v78 row_newbcast:6 row_mask:0xf bank_mask:0xf// 000000006458: 0A9C9CFA FF01562B
	v_mul_f32_dpp v79, v43, v79 row_newbcast:7 row_mask:0xf bank_mask:0xf// 000000006460: 0A9E9EFA FF01572B
	v_mul_f32_e32 v80, v13, v80                                // 000000006468: 0AA0A10D
	v_mul_f32_e32 v81, v13, v81                                // 00000000646C: 0AA2A30D
	v_mul_f32_e32 v82, v13, v82                                // 000000006470: 0AA4A50D
	v_mul_f32_e32 v83, v13, v83                                // 000000006474: 0AA6A70D
	v_mul_f32_dpp v80, v43, v80 row_newbcast:8 row_mask:0xf bank_mask:0xf// 000000006478: 0AA0A0FA FF01582B
	v_mul_f32_dpp v81, v43, v81 row_newbcast:9 row_mask:0xf bank_mask:0xf// 000000006480: 0AA2A2FA FF01592B
	v_mul_f32_dpp v82, v43, v82 row_newbcast:10 row_mask:0xf bank_mask:0xf// 000000006488: 0AA4A4FA FF015A2B
	v_mul_f32_dpp v83, v43, v83 row_newbcast:11 row_mask:0xf bank_mask:0xf// 000000006490: 0AA6A6FA FF015B2B
	v_mul_f32_e32 v84, v14, v84                                // 000000006498: 0AA8A90E
	v_mul_f32_e32 v85, v14, v85                                // 00000000649C: 0AAAAB0E
	v_mul_f32_e32 v86, v14, v86                                // 0000000064A0: 0AACAD0E
	v_mul_f32_e32 v87, v14, v87                                // 0000000064A4: 0AAEAF0E
	v_mul_f32_dpp v84, v43, v84 row_newbcast:8 row_mask:0xf bank_mask:0xf// 0000000064A8: 0AA8A8FA FF01582B
	v_mul_f32_dpp v85, v43, v85 row_newbcast:9 row_mask:0xf bank_mask:0xf// 0000000064B0: 0AAAAAFA FF01592B
	v_mul_f32_dpp v86, v43, v86 row_newbcast:10 row_mask:0xf bank_mask:0xf// 0000000064B8: 0AACACFA FF015A2B
	v_mul_f32_dpp v87, v43, v87 row_newbcast:11 row_mask:0xf bank_mask:0xf// 0000000064C0: 0AAEAEFA FF015B2B
	s_waitcnt vmcnt(8)                                         // 0000000064C8: BF8C0F78
	buffer_load_dwordx4 a[0:3], v35, s[12:15], 0 offen         // 0000000064CC: E05C1000 80830023
	v_mul_f32_e64 v44, -v128, s6                               // 0000000064D4: D105002C 20000D80
	v_mul_f32_e64 v45, -v129, s6                               // 0000000064DC: D105002D 20000D81
	v_mul_f32_e64 v46, -v130, s6                               // 0000000064E4: D105002E 20000D82
	v_mul_f32_e64 v47, -v131, s6                               // 0000000064EC: D105002F 20000D83
	v_exp_f32_e32 v44, v44                                     // 0000000064F4: 7E58412C
	v_exp_f32_e32 v45, v45                                     // 0000000064F8: 7E5A412D
	v_exp_f32_e32 v46, v46                                     // 0000000064FC: 7E5C412E
	v_exp_f32_e32 v47, v47                                     // 000000006500: 7E5E412F
	buffer_load_dwordx4 a[4:7], v36, s[12:15], 0 offen         // 000000006504: E05C1000 80830424
	v_add_f32_e64 v44, v44, 1.0                                // 00000000650C: D101002C 0001E52C
	v_add_f32_e64 v45, v45, 1.0                                // 000000006514: D101002D 0001E52D
	v_add_f32_e64 v46, v46, 1.0                                // 00000000651C: D101002E 0001E52E
	v_add_f32_e64 v47, v47, 1.0                                // 000000006524: D101002F 0001E52F
	v_rcp_f32_e32 v44, v44                                     // 00000000652C: 7E58452C
	v_rcp_f32_e32 v45, v45                                     // 000000006530: 7E5A452D
	v_rcp_f32_e32 v46, v46                                     // 000000006534: 7E5C452E
	v_rcp_f32_e32 v47, v47                                     // 000000006538: 7E5E452F
	v_mul_f32_e32 v128, v128, v44                              // 00000000653C: 0B005980
	v_mul_f32_e32 v129, v129, v45                              // 000000006540: 0B025B81
	v_mul_f32_e32 v130, v130, v46                              // 000000006544: 0B045D82
	v_mul_f32_e32 v131, v131, v47                              // 000000006548: 0B065F83
	v_mul_f32_e32 v128, v128, v64                              // 00000000654C: 0B008180
	v_mul_f32_e32 v129, v129, v65                              // 000000006550: 0B028381
	v_mul_f32_e32 v130, v130, v66                              // 000000006554: 0B048582
	v_mul_f32_e32 v131, v131, v67                              // 000000006558: 0B068783
	buffer_load_dwordx4 a[8:11], v37, s[12:15], 0 offen        // 00000000655C: E05C1000 80830825
	v_mul_f32_e64 v44, -v132, s6                               // 000000006564: D105002C 20000D84
	v_mul_f32_e64 v45, -v133, s6                               // 00000000656C: D105002D 20000D85
	v_mul_f32_e64 v46, -v134, s6                               // 000000006574: D105002E 20000D86
	v_mul_f32_e64 v47, -v135, s6                               // 00000000657C: D105002F 20000D87
	v_exp_f32_e32 v44, v44                                     // 000000006584: 7E58412C
	v_exp_f32_e32 v45, v45                                     // 000000006588: 7E5A412D
	v_exp_f32_e32 v46, v46                                     // 00000000658C: 7E5C412E
	v_exp_f32_e32 v47, v47                                     // 000000006590: 7E5E412F
	buffer_load_dwordx4 a[12:15], v38, s[12:15], 0 offen       // 000000006594: E05C1000 80830C26
	s_add_u32 s12, s78, s12                                    // 00000000659C: 800C0C4E
	s_addc_u32 s13, 0, s13                                     // 0000000065A0: 820D0D80
	v_add_f32_e64 v44, v44, 1.0                                // 0000000065A4: D101002C 0001E52C
	v_add_f32_e64 v45, v45, 1.0                                // 0000000065AC: D101002D 0001E52D
	v_add_f32_e64 v46, v46, 1.0                                // 0000000065B4: D101002E 0001E52E
	v_add_f32_e64 v47, v47, 1.0                                // 0000000065BC: D101002F 0001E52F
	v_rcp_f32_e32 v44, v44                                     // 0000000065C4: 7E58452C
	v_rcp_f32_e32 v45, v45                                     // 0000000065C8: 7E5A452D
	v_rcp_f32_e32 v46, v46                                     // 0000000065CC: 7E5C452E
	v_rcp_f32_e32 v47, v47                                     // 0000000065D0: 7E5E452F
	v_mul_f32_e32 v132, v132, v44                              // 0000000065D4: 0B085984
	v_mul_f32_e32 v133, v133, v45                              // 0000000065D8: 0B0A5B85
	v_mul_f32_e32 v134, v134, v46                              // 0000000065DC: 0B0C5D86
	v_mul_f32_e32 v135, v135, v47                              // 0000000065E0: 0B0E5F87
	v_mul_f32_e32 v132, v132, v68                              // 0000000065E4: 0B088984
	v_mul_f32_e32 v133, v133, v69                              // 0000000065E8: 0B0A8B85
	v_mul_f32_e32 v134, v134, v70                              // 0000000065EC: 0B0C8D86
	v_mul_f32_e32 v135, v135, v71                              // 0000000065F0: 0B0E8F87
	s_waitcnt vmcnt(8)                                         // 0000000065F4: BF8C0F78
	buffer_load_dwordx4 a[16:19], v35, s[12:15], 0 offen       // 0000000065F8: E05C1000 80831023
	v_mul_f32_e64 v44, -v136, s6                               // 000000006600: D105002C 20000D88
	v_mul_f32_e64 v45, -v137, s6                               // 000000006608: D105002D 20000D89
	v_mul_f32_e64 v46, -v138, s6                               // 000000006610: D105002E 20000D8A
	v_mul_f32_e64 v47, -v139, s6                               // 000000006618: D105002F 20000D8B
	v_exp_f32_e32 v44, v44                                     // 000000006620: 7E58412C
	v_exp_f32_e32 v45, v45                                     // 000000006624: 7E5A412D
	v_exp_f32_e32 v46, v46                                     // 000000006628: 7E5C412E
	v_exp_f32_e32 v47, v47                                     // 00000000662C: 7E5E412F
	buffer_load_dwordx4 a[20:23], v36, s[12:15], 0 offen       // 000000006630: E05C1000 80831424
	v_add_f32_e64 v44, v44, 1.0                                // 000000006638: D101002C 0001E52C
	v_add_f32_e64 v45, v45, 1.0                                // 000000006640: D101002D 0001E52D
	v_add_f32_e64 v46, v46, 1.0                                // 000000006648: D101002E 0001E52E
	v_add_f32_e64 v47, v47, 1.0                                // 000000006650: D101002F 0001E52F
	v_rcp_f32_e32 v44, v44                                     // 000000006658: 7E58452C
	v_rcp_f32_e32 v45, v45                                     // 00000000665C: 7E5A452D
	v_rcp_f32_e32 v46, v46                                     // 000000006660: 7E5C452E
	v_rcp_f32_e32 v47, v47                                     // 000000006664: 7E5E452F
	v_mul_f32_e32 v136, v136, v44                              // 000000006668: 0B105988
	v_mul_f32_e32 v137, v137, v45                              // 00000000666C: 0B125B89
	v_mul_f32_e32 v138, v138, v46                              // 000000006670: 0B145D8A
	v_mul_f32_e32 v139, v139, v47                              // 000000006674: 0B165F8B
	v_mul_f32_e32 v136, v136, v72                              // 000000006678: 0B109188
	v_mul_f32_e32 v137, v137, v73                              // 00000000667C: 0B129389
	v_mul_f32_e32 v138, v138, v74                              // 000000006680: 0B14958A
	v_mul_f32_e32 v139, v139, v75                              // 000000006684: 0B16978B
	buffer_load_dwordx4 a[24:27], v37, s[12:15], 0 offen       // 000000006688: E05C1000 80831825
	v_mul_f32_e64 v44, -v140, s6                               // 000000006690: D105002C 20000D8C
	v_mul_f32_e64 v45, -v141, s6                               // 000000006698: D105002D 20000D8D
	v_mul_f32_e64 v46, -v142, s6                               // 0000000066A0: D105002E 20000D8E
	v_mul_f32_e64 v47, -v143, s6                               // 0000000066A8: D105002F 20000D8F
	v_exp_f32_e32 v44, v44                                     // 0000000066B0: 7E58412C
	v_exp_f32_e32 v45, v45                                     // 0000000066B4: 7E5A412D
	v_exp_f32_e32 v46, v46                                     // 0000000066B8: 7E5C412E
	v_exp_f32_e32 v47, v47                                     // 0000000066BC: 7E5E412F
	buffer_load_dwordx4 a[28:31], v38, s[12:15], 0 offen       // 0000000066C0: E05C1000 80831C26
	s_add_u32 s12, s78, s12                                    // 0000000066C8: 800C0C4E
	s_addc_u32 s13, 0, s13                                     // 0000000066CC: 820D0D80
	v_add_f32_e64 v44, v44, 1.0                                // 0000000066D0: D101002C 0001E52C
	v_add_f32_e64 v45, v45, 1.0                                // 0000000066D8: D101002D 0001E52D
	v_add_f32_e64 v46, v46, 1.0                                // 0000000066E0: D101002E 0001E52E
	v_add_f32_e64 v47, v47, 1.0                                // 0000000066E8: D101002F 0001E52F
	v_rcp_f32_e32 v44, v44                                     // 0000000066F0: 7E58452C
	v_rcp_f32_e32 v45, v45                                     // 0000000066F4: 7E5A452D
	v_rcp_f32_e32 v46, v46                                     // 0000000066F8: 7E5C452E
	v_rcp_f32_e32 v47, v47                                     // 0000000066FC: 7E5E452F
	v_mul_f32_e32 v140, v140, v44                              // 000000006700: 0B18598C
	v_mul_f32_e32 v141, v141, v45                              // 000000006704: 0B1A5B8D
	v_mul_f32_e32 v142, v142, v46                              // 000000006708: 0B1C5D8E
	v_mul_f32_e32 v143, v143, v47                              // 00000000670C: 0B1E5F8F
	v_mul_f32_e32 v140, v140, v76                              // 000000006710: 0B18998C
	v_mul_f32_e32 v141, v141, v77                              // 000000006714: 0B1A9B8D
	v_mul_f32_e32 v142, v142, v78                              // 000000006718: 0B1C9D8E
	v_mul_f32_e32 v143, v143, v79                              // 00000000671C: 0B1E9F8F
	s_waitcnt vmcnt(8)                                         // 000000006720: BF8C0F78
	buffer_load_dwordx4 a[32:35], v35, s[12:15], 0 offen       // 000000006724: E05C1000 80832023
	v_mul_f32_e64 v44, -v144, s6                               // 00000000672C: D105002C 20000D90
	v_mul_f32_e64 v45, -v145, s6                               // 000000006734: D105002D 20000D91
	v_mul_f32_e64 v46, -v146, s6                               // 00000000673C: D105002E 20000D92
	v_mul_f32_e64 v47, -v147, s6                               // 000000006744: D105002F 20000D93
	v_exp_f32_e32 v44, v44                                     // 00000000674C: 7E58412C
	v_exp_f32_e32 v45, v45                                     // 000000006750: 7E5A412D
	v_exp_f32_e32 v46, v46                                     // 000000006754: 7E5C412E
	v_exp_f32_e32 v47, v47                                     // 000000006758: 7E5E412F
	buffer_load_dwordx4 a[36:39], v36, s[12:15], 0 offen       // 00000000675C: E05C1000 80832424
	v_add_f32_e64 v44, v44, 1.0                                // 000000006764: D101002C 0001E52C
	v_add_f32_e64 v45, v45, 1.0                                // 00000000676C: D101002D 0001E52D
	v_add_f32_e64 v46, v46, 1.0                                // 000000006774: D101002E 0001E52E
	v_add_f32_e64 v47, v47, 1.0                                // 00000000677C: D101002F 0001E52F
	v_rcp_f32_e32 v44, v44                                     // 000000006784: 7E58452C
	v_rcp_f32_e32 v45, v45                                     // 000000006788: 7E5A452D
	v_rcp_f32_e32 v46, v46                                     // 00000000678C: 7E5C452E
	v_rcp_f32_e32 v47, v47                                     // 000000006790: 7E5E452F
	v_mul_f32_e32 v144, v144, v44                              // 000000006794: 0B205990
	v_mul_f32_e32 v145, v145, v45                              // 000000006798: 0B225B91
	v_mul_f32_e32 v146, v146, v46                              // 00000000679C: 0B245D92
	v_mul_f32_e32 v147, v147, v47                              // 0000000067A0: 0B265F93
	v_mul_f32_e32 v144, v144, v80                              // 0000000067A4: 0B20A190
	v_mul_f32_e32 v145, v145, v81                              // 0000000067A8: 0B22A391
	v_mul_f32_e32 v146, v146, v82                              // 0000000067AC: 0B24A592
	v_mul_f32_e32 v147, v147, v83                              // 0000000067B0: 0B26A793
	buffer_load_dwordx4 a[40:43], v37, s[12:15], 0 offen       // 0000000067B4: E05C1000 80832825
	v_mul_f32_e64 v44, -v148, s6                               // 0000000067BC: D105002C 20000D94
	v_mul_f32_e64 v45, -v149, s6                               // 0000000067C4: D105002D 20000D95
	v_mul_f32_e64 v46, -v150, s6                               // 0000000067CC: D105002E 20000D96
	v_mul_f32_e64 v47, -v151, s6                               // 0000000067D4: D105002F 20000D97
	v_exp_f32_e32 v44, v44                                     // 0000000067DC: 7E58412C
	v_exp_f32_e32 v45, v45                                     // 0000000067E0: 7E5A412D
	v_exp_f32_e32 v46, v46                                     // 0000000067E4: 7E5C412E
	v_exp_f32_e32 v47, v47                                     // 0000000067E8: 7E5E412F
	buffer_load_dwordx4 a[44:47], v38, s[12:15], 0 offen       // 0000000067EC: E05C1000 80832C26
	v_add_f32_e64 v44, v44, 1.0                                // 0000000067F4: D101002C 0001E52C
	v_add_f32_e64 v45, v45, 1.0                                // 0000000067FC: D101002D 0001E52D
	v_add_f32_e64 v46, v46, 1.0                                // 000000006804: D101002E 0001E52E
	v_add_f32_e64 v47, v47, 1.0                                // 00000000680C: D101002F 0001E52F
	v_rcp_f32_e32 v44, v44                                     // 000000006814: 7E58452C
	v_rcp_f32_e32 v45, v45                                     // 000000006818: 7E5A452D
	v_rcp_f32_e32 v46, v46                                     // 00000000681C: 7E5C452E
	v_rcp_f32_e32 v47, v47                                     // 000000006820: 7E5E452F
	v_mul_f32_e32 v148, v148, v44                              // 000000006824: 0B285994
	v_mul_f32_e32 v149, v149, v45                              // 000000006828: 0B2A5B95
	v_mul_f32_e32 v150, v150, v46                              // 00000000682C: 0B2C5D96
	v_mul_f32_e32 v151, v151, v47                              // 000000006830: 0B2E5F97
	v_mul_f32_e32 v148, v148, v84                              // 000000006834: 0B28A994
	v_mul_f32_e32 v149, v149, v85                              // 000000006838: 0B2AAB95
	v_mul_f32_e32 v150, v150, v86                              // 00000000683C: 0B2CAD96
	v_mul_f32_e32 v151, v151, v87                              // 000000006840: 0B2EAF97
	v_lshlrev_b32_e32 v44, 2, v0                               // 000000006844: 24580082
	s_mul_i32 s60, s82, s71                                    // 000000006848: 923C4752
	v_add_u32_e64 v80, v44, s60                                // 00000000684C: D1340050 0000792C
	v_mov_b32_e32 v81, 0                                       // 000000006854: 7EA20280
	s_mul_i32 s60, s83, s71                                    // 000000006858: 923C4753
	v_add_u32_e64 v82, v44, s60                                // 00000000685C: D1340052 0000792C
	v_mov_b32_e32 v83, 0                                       // 000000006864: 7EA60280
	s_mul_i32 s60, s84, s71                                    // 000000006868: 923C4754
	v_add_u32_e64 v84, v44, s60                                // 00000000686C: D1340054 0000792C
	v_mov_b32_e32 v85, 0                                       // 000000006874: 7EAA0280
	s_mul_i32 s60, s85, s71                                    // 000000006878: 923C4755
	v_add_u32_e64 v86, v44, s60                                // 00000000687C: D1340056 0000792C
	v_mov_b32_e32 v87, 0                                       // 000000006884: 7EAE0280
	s_mul_i32 s60, s86, s71                                    // 000000006888: 923C4756
	v_add_u32_e64 v88, v44, s60                                // 00000000688C: D1340058 0000792C
	v_mov_b32_e32 v89, 0                                       // 000000006894: 7EB20280
	s_mul_i32 s60, s87, s71                                    // 000000006898: 923C4757
	v_add_u32_e64 v90, v44, s60                                // 00000000689C: D134005A 0000792C
	v_mov_b32_e32 v91, 0                                       // 0000000068A4: 7EB60280
	s_mul_i32 s60, s88, s71                                    // 0000000068A8: 923C4758
	v_add_u32_e64 v92, v44, s60                                // 0000000068AC: D134005C 0000792C
	v_mov_b32_e32 v93, 0                                       // 0000000068B4: 7EBA0280
	s_mul_i32 s60, s89, s71                                    // 0000000068B8: 923C4759
	v_add_u32_e64 v94, v44, s60                                // 0000000068BC: D134005E 0000792C
	v_mov_b32_e32 v95, 0                                       // 0000000068C4: 7EBE0280
	buffer_load_dword v11, v5, s[16:19], 0 offen               // 0000000068C8: E0501000 80040B05
	v_mov_b32_e32 v20, 0x358637bd                              // 0000000068D0: 7E2802FF 358637BD
	v_mov_b32_e32 v21, 0x358637bd                              // 0000000068D8: 7E2A02FF 358637BD
	v_max3_f32 v20, |v128|, |v129|, v20                        // 0000000068E0: D1D30314 04530380
	v_max3_f32 v20, |v130|, |v131|, v20                        // 0000000068E8: D1D30314 04530782
	v_max3_f32 v21, |v132|, |v133|, v21                        // 0000000068F0: D1D30315 04570B84
	v_max3_f32 v21, |v134|, |v135|, v21                        // 0000000068F8: D1D30315 04570F86
	v_max3_f32 v20, |v136|, |v137|, v20                        // 000000006900: D1D30314 04531388
	v_max3_f32 v20, |v138|, |v139|, v20                        // 000000006908: D1D30314 0453178A
	v_max3_f32 v21, |v140|, |v141|, v21                        // 000000006910: D1D30315 04571B8C
	v_max3_f32 v21, |v142|, |v143|, v21                        // 000000006918: D1D30315 04571F8E
	v_max3_f32 v20, |v144|, |v145|, v20                        // 000000006920: D1D30314 04532390
	v_max3_f32 v20, |v146|, |v147|, v20                        // 000000006928: D1D30314 04532792
	v_max3_f32 v21, |v148|, |v149|, v21                        // 000000006930: D1D30315 04572B94
	v_max3_f32 v21, |v150|, |v151|, v21                        // 000000006938: D1D30315 04572F96
	v_lshlrev_b32_e32 v44, 3, v0                               // 000000006940: 24580083
	s_mul_i32 s60, 0x200, s7                                   // 000000006944: 923C07FF 00000200
	v_add_u32_e32 v44, s60, v44                                // 00000000694C: 6858583C
	ds_write_b64 v44, v[20:21] offset:16640                    // 000000006950: D89A4100 0000142C
	s_waitcnt lgkmcnt(0)                                       // 000000006958: BF8CC07F
	s_barrier                                                  // 00000000695C: BF8A0000
	v_and_b32_e32 v44, 15, v0                                  // 000000006960: 2658008F
	v_lshlrev_b32_e32 v44, 3, v44                              // 000000006964: 24585883
	ds_read_b64 v[96:97], v44 offset:16640                     // 000000006968: D8EC4100 6000002C
	ds_read_b64 v[98:99], v44 offset:16768                     // 000000006970: D8EC4180 6200002C
	ds_read_b64 v[100:101], v44 offset:16896                   // 000000006978: D8EC4200 6400002C
	ds_read_b64 v[102:103], v44 offset:17024                   // 000000006980: D8EC4280 6600002C
	ds_read_b64 v[104:105], v44 offset:17152                   // 000000006988: D8EC4300 6800002C
	ds_read_b64 v[106:107], v44 offset:17280                   // 000000006990: D8EC4380 6A00002C
	ds_read_b64 v[108:109], v44 offset:17408                   // 000000006998: D8EC4400 6C00002C
	ds_read_b64 v[110:111], v44 offset:17536                   // 0000000069A0: D8EC4480 6E00002C
	ds_read_b64 v[112:113], v44 offset:17664                   // 0000000069A8: D8EC4500 7000002C
	ds_read_b64 v[114:115], v44 offset:17792                   // 0000000069B0: D8EC4580 7200002C
	ds_read_b64 v[116:117], v44 offset:17920                   // 0000000069B8: D8EC4600 7400002C
	ds_read_b64 v[118:119], v44 offset:18048                   // 0000000069C0: D8EC4680 7600002C
	ds_read_b64 v[120:121], v44 offset:18176                   // 0000000069C8: D8EC4700 7800002C
	ds_read_b64 v[122:123], v44 offset:18304                   // 0000000069D0: D8EC4780 7A00002C
	ds_read_b64 v[124:125], v44 offset:18432                   // 0000000069D8: D8EC4800 7C00002C
	ds_read_b64 v[126:127], v44 offset:18560                   // 0000000069E0: D8EC4880 7E00002C
	s_waitcnt lgkmcnt(0)                                       // 0000000069E8: BF8CC07F
	v_max3_f32 v20, |v96|, |v98|, v20                          // 0000000069EC: D1D30314 0452C560
	v_max3_f32 v21, |v97|, |v99|, v21                          // 0000000069F4: D1D30315 0456C761
	v_max3_f32 v20, |v100|, |v102|, v20                        // 0000000069FC: D1D30314 0452CD64
	v_max3_f32 v21, |v101|, |v103|, v21                        // 000000006A04: D1D30315 0456CF65
	v_max3_f32 v20, |v104|, |v106|, v20                        // 000000006A0C: D1D30314 0452D568
	v_max3_f32 v21, |v105|, |v107|, v21                        // 000000006A14: D1D30315 0456D769
	v_max3_f32 v20, |v108|, |v110|, v20                        // 000000006A1C: D1D30314 0452DD6C
	v_max3_f32 v21, |v109|, |v111|, v21                        // 000000006A24: D1D30315 0456DF6D
	v_max3_f32 v20, |v112|, |v114|, v20                        // 000000006A2C: D1D30314 0452E570
	v_max3_f32 v21, |v113|, |v115|, v21                        // 000000006A34: D1D30315 0456E771
	v_max3_f32 v20, |v116|, |v118|, v20                        // 000000006A3C: D1D30314 0452ED74
	v_max3_f32 v21, |v117|, |v119|, v21                        // 000000006A44: D1D30315 0456EF75
	v_max3_f32 v20, |v120|, |v122|, v20                        // 000000006A4C: D1D30314 0452F578
	v_max3_f32 v21, |v121|, |v123|, v21                        // 000000006A54: D1D30315 0456F779
	v_max3_f32 v20, |v124|, |v126|, v20                        // 000000006A5C: D1D30314 0452FD7C
	v_max3_f32 v21, |v125|, |v127|, v21                        // 000000006A64: D1D30315 0456FF7D
	v_rcp_f32_e32 v20, v20                                     // 000000006A6C: 7E284514
	v_rcp_f32_e32 v21, v21                                     // 000000006A70: 7E2A4515
	v_mov_b32_e32 v44, 0x43e00000                              // 000000006A74: 7E5802FF 43E00000
	v_mul_f32_e32 v20, v44, v20                                // 000000006A7C: 0A28292C
	v_mul_f32_e32 v21, v44, v21                                // 000000006A80: 0A2A2B2C
	v_mul_f32_e32 v128, v20, v128                              // 000000006A84: 0B010114
	v_mul_f32_e32 v129, v20, v129                              // 000000006A88: 0B030314
	v_mul_f32_e32 v130, v20, v130                              // 000000006A8C: 0B050514
	v_mul_f32_e32 v131, v20, v131                              // 000000006A90: 0B070714
	v_cvt_pk_fp8_f32 v128, v128, v129                          // 000000006A94: D2A20080 00030380
	v_cvt_pk_fp8_f32 v128, v130, v131 op_sel:[0,0,1]           // 000000006A9C: D2A24080 00030782
	v_mul_f32_e32 v132, v21, v132                              // 000000006AA4: 0B090915
	v_mul_f32_e32 v133, v21, v133                              // 000000006AA8: 0B0B0B15
	v_mul_f32_e32 v134, v21, v134                              // 000000006AAC: 0B0D0D15
	v_mul_f32_e32 v135, v21, v135                              // 000000006AB0: 0B0F0F15
	v_cvt_pk_fp8_f32 v129, v132, v133                          // 000000006AB4: D2A20081 00030B84
	v_cvt_pk_fp8_f32 v129, v134, v135 op_sel:[0,0,1]           // 000000006ABC: D2A24081 00030F86
	v_mul_f32_e32 v136, v20, v136                              // 000000006AC4: 0B111114
	v_mul_f32_e32 v137, v20, v137                              // 000000006AC8: 0B131314
	v_mul_f32_e32 v138, v20, v138                              // 000000006ACC: 0B151514
	v_mul_f32_e32 v139, v20, v139                              // 000000006AD0: 0B171714
	v_cvt_pk_fp8_f32 v130, v136, v137                          // 000000006AD4: D2A20082 00031388
	v_cvt_pk_fp8_f32 v130, v138, v139 op_sel:[0,0,1]           // 000000006ADC: D2A24082 0003178A
	v_mul_f32_e32 v140, v21, v140                              // 000000006AE4: 0B191915
	v_mul_f32_e32 v141, v21, v141                              // 000000006AE8: 0B1B1B15
	v_mul_f32_e32 v142, v21, v142                              // 000000006AEC: 0B1D1D15
	v_mul_f32_e32 v143, v21, v143                              // 000000006AF0: 0B1F1F15
	v_cvt_pk_fp8_f32 v131, v140, v141                          // 000000006AF4: D2A20083 00031B8C
	v_cvt_pk_fp8_f32 v131, v142, v143 op_sel:[0,0,1]           // 000000006AFC: D2A24083 00031F8E
	v_mul_f32_e32 v144, v20, v144                              // 000000006B04: 0B212114
	v_mul_f32_e32 v145, v20, v145                              // 000000006B08: 0B232314
	v_mul_f32_e32 v146, v20, v146                              // 000000006B0C: 0B252514
	v_mul_f32_e32 v147, v20, v147                              // 000000006B10: 0B272714
	v_cvt_pk_fp8_f32 v132, v144, v145                          // 000000006B14: D2A20084 00032390
	v_cvt_pk_fp8_f32 v132, v146, v147 op_sel:[0,0,1]           // 000000006B1C: D2A24084 00032792
	v_mul_f32_e32 v148, v21, v148                              // 000000006B24: 0B292915
	v_mul_f32_e32 v149, v21, v149                              // 000000006B28: 0B2B2B15
	v_mul_f32_e32 v150, v21, v150                              // 000000006B2C: 0B2D2D15
	v_mul_f32_e32 v151, v21, v151                              // 000000006B30: 0B2F2F15
	v_cvt_pk_fp8_f32 v133, v148, v149                          // 000000006B34: D2A20085 00032B94
	v_cvt_pk_fp8_f32 v133, v150, v151 op_sel:[0,0,1]           // 000000006B3C: D2A24085 00032F96
	v_rcp_f32_e32 v22, v20                                     // 000000006B44: 7E2C4514
	v_rcp_f32_e32 v23, v21                                     // 000000006B48: 7E2E4515
	v_lshrrev_b32_e32 v44, 5, v0                               // 000000006B4C: 20580085
	v_lshlrev_b32_e32 v45, 5, v44                              // 000000006B50: 245A5885
	v_and_b32_e32 v44, 31, v0                                  // 000000006B54: 2658009F
	v_lshrrev_b32_e32 v46, 4, v44                              // 000000006B58: 205C5884
	v_add_u32_e32 v45, v46, v45                                // 000000006B5C: 685A5B2E
	v_and_b32_e32 v44, 15, v0                                  // 000000006B60: 2658008F
	v_lshlrev_b32_e32 v44, 1, v44                              // 000000006B64: 24585881
	v_add_u32_e32 v45, v44, v45                                // 000000006B68: 685A5B2C
	v_lshlrev_b32_e32 v44, 2, v45                              // 000000006B6C: 24585A82
	s_mul_i32 s60, 0x100, s7                                   // 000000006B70: 923C07FF 00000100
	v_add_u32_e64 v44, v44, s60                                // 000000006B78: D134002C 0000792C
	ds_write_b32 v44, v128 offset:18688                        // 000000006B80: D81A4900 0000802C
	ds_write_b32 v44, v129 offset:21760                        // 000000006B88: D81A5500 0000812C
	ds_write_b32 v44, v130 offset:19712                        // 000000006B90: D81A4D00 0000822C
	ds_write_b32 v44, v131 offset:22784                        // 000000006B98: D81A5900 0000832C
	ds_write_b32 v44, v132 offset:20736                        // 000000006BA0: D81A5100 0000842C
	ds_write_b32 v44, v133 offset:23808                        // 000000006BA8: D81A5D00 0000852C
	s_waitcnt lgkmcnt(0)                                       // 000000006BB0: BF8CC07F
	s_barrier                                                  // 000000006BB4: BF8A0000
	v_lshrrev_b32_e32 v44, 4, v0                               // 000000006BB8: 20580084
	v_lshlrev_b32_e32 v45, 6, v44                              // 000000006BBC: 245A5886
	v_and_b32_e32 v44, 15, v0                                  // 000000006BC0: 2658008F
	v_lshlrev_b32_e32 v44, 1, v44                              // 000000006BC4: 24585881
	v_add_u32_e32 v45, v44, v45                                // 000000006BC8: 685A5B2C
	v_lshlrev_b32_e32 v44, 2, v45                              // 000000006BCC: 24585A82
	ds_read_b64 v[128:129], v44 offset:18688                   // 000000006BD0: D8EC4900 8000002C
	ds_read_b64 v[130:131], v44 offset:18816                   // 000000006BD8: D8EC4980 8200002C
	ds_read_b64 v[132:133], v44 offset:19712                   // 000000006BE0: D8EC4D00 8400002C
	ds_read_b64 v[134:135], v44 offset:19840                   // 000000006BE8: D8EC4D80 8600002C
	ds_read_b64 v[136:137], v44 offset:20736                   // 000000006BF0: D8EC5100 8800002C
	ds_read_b64 v[138:139], v44 offset:20864                   // 000000006BF8: D8EC5180 8A00002C
	ds_read_b64 v[140:141], v44 offset:21760                   // 000000006C00: D8EC5500 8C00002C
	ds_read_b64 v[142:143], v44 offset:21888                   // 000000006C08: D8EC5580 8E00002C
	ds_read_b64 v[144:145], v44 offset:22784                   // 000000006C10: D8EC5900 9000002C
	ds_read_b64 v[146:147], v44 offset:22912                   // 000000006C18: D8EC5980 9200002C
	ds_read_b64 v[148:149], v44 offset:23808                   // 000000006C20: D8EC5D00 9400002C
	ds_read_b64 v[150:151], v44 offset:23936                   // 000000006C28: D8EC5D80 9600002C
	s_add_u32 s12, s56, s12                                    // 000000006C30: 800C0C38
	s_addc_u32 s13, 0, s13                                     // 000000006C34: 820D0D80
	s_add_u32 s16, s79, s16                                    // 000000006C38: 8010104F
	s_addc_u32 s17, 0, s17                                     // 000000006C3C: 82111180
	s_waitcnt lgkmcnt(0)                                       // 000000006C40: BF8CC07F
	s_barrier                                                  // 000000006C44: BF8A0000
	v_mov_b32_e32 v152, 0                                      // 000000006C48: 7F300280
	v_mov_b32_e32 v184, 0                                      // 000000006C4C: 7F700280
	v_mov_b32_e32 v153, 0                                      // 000000006C50: 7F320280
	v_mov_b32_e32 v185, 0                                      // 000000006C54: 7F720280
	v_mov_b32_e32 v154, 0                                      // 000000006C58: 7F340280
	v_mov_b32_e32 v186, 0                                      // 000000006C5C: 7F740280
	v_mov_b32_e32 v155, 0                                      // 000000006C60: 7F360280
	v_mov_b32_e32 v187, 0                                      // 000000006C64: 7F760280
	v_mov_b32_e32 v156, 0                                      // 000000006C68: 7F380280
	v_mov_b32_e32 v188, 0                                      // 000000006C6C: 7F780280
	v_mov_b32_e32 v157, 0                                      // 000000006C70: 7F3A0280
	v_mov_b32_e32 v189, 0                                      // 000000006C74: 7F7A0280
	v_mov_b32_e32 v158, 0                                      // 000000006C78: 7F3C0280
	v_mov_b32_e32 v190, 0                                      // 000000006C7C: 7F7C0280
	v_mov_b32_e32 v159, 0                                      // 000000006C80: 7F3E0280
	v_mov_b32_e32 v191, 0                                      // 000000006C84: 7F7E0280
	v_mov_b32_e32 v160, 0                                      // 000000006C88: 7F400280
	v_mov_b32_e32 v192, 0                                      // 000000006C8C: 7F800280
	v_mov_b32_e32 v161, 0                                      // 000000006C90: 7F420280
	v_mov_b32_e32 v193, 0                                      // 000000006C94: 7F820280
	v_mov_b32_e32 v162, 0                                      // 000000006C98: 7F440280
	v_mov_b32_e32 v194, 0                                      // 000000006C9C: 7F840280
	v_mov_b32_e32 v163, 0                                      // 000000006CA0: 7F460280
	v_mov_b32_e32 v195, 0                                      // 000000006CA4: 7F860280
	v_mov_b32_e32 v164, 0                                      // 000000006CA8: 7F480280
	v_mov_b32_e32 v196, 0                                      // 000000006CAC: 7F880280
	v_mov_b32_e32 v165, 0                                      // 000000006CB0: 7F4A0280
	v_mov_b32_e32 v197, 0                                      // 000000006CB4: 7F8A0280
	v_mov_b32_e32 v166, 0                                      // 000000006CB8: 7F4C0280
	v_mov_b32_e32 v198, 0                                      // 000000006CBC: 7F8C0280
	v_mov_b32_e32 v167, 0                                      // 000000006CC0: 7F4E0280
	v_mov_b32_e32 v199, 0                                      // 000000006CC4: 7F8E0280
	ds_write_b64 v3, v[152:153] offset:18688                   // 000000006CC8: D89A4900 00009803
	ds_write_b64 v3, v[154:155] offset:27392                   // 000000006CD0: D89A6B00 00009A03
	ds_write_b64 v3, v[156:157] offset:20864                   // 000000006CD8: D89A5180 00009C03
	ds_write_b64 v3, v[158:159] offset:29568                   // 000000006CE0: D89A7380 00009E03
	ds_write_b64 v3, v[160:161] offset:23040                   // 000000006CE8: D89A5A00 0000A003
	ds_write_b64 v3, v[162:163] offset:31744                   // 000000006CF0: D89A7C00 0000A203
	ds_write_b64 v3, v[164:165] offset:25216                   // 000000006CF8: D89A6280 0000A403
	ds_write_b64 v3, v[166:167] offset:33920                   // 000000006D00: D89A8480 0000A603
	s_mov_b32 s80, 0                                           // 000000006D08: BED00080
	s_waitcnt vmcnt(0) expcnt(0) lgkmcnt(0)                    // 000000006D0C: BF8C0000

0000000000006d10 <label_0FC4>:
	s_waitcnt vmcnt(9) lgkmcnt(0)                              // 000000006D10: BF8C0079
	s_barrier                                                  // 000000006D14: BF8A0000
	v_mfma_f32_16x16x32_fp8_fp8 v[152:155], a[0:1], v[128:129], 0// 000000006D18: D3F30098 0A030100
	buffer_load_dwordx4 a[48:51], v35, s[12:15], 0 offen       // 000000006D20: E05C1000 80833023
	v_mfma_f32_16x16x32_fp8_fp8 v[152:155], a[2:3], v[130:131], v[152:155]// 000000006D28: D3F30098 0E630502
	ds_read_b32 v64, v4 offset:18688                           // 000000006D30: D86C4900 40000004
	ds_read_b32 v65, v4 offset:23040                           // 000000006D38: D86C5A00 41000004
	v_mfma_f32_16x16x32_fp8_fp8 v[156:159], a[0:1], v[140:141], 0// 000000006D40: D3F3009C 0A031900
	v_mfma_f32_16x16x32_fp8_fp8 v[156:159], a[2:3], v[142:143], v[156:159]// 000000006D48: D3F3009C 0E731D02
	ds_read_b32 v66, v4 offset:18720                           // 000000006D50: D86C4920 42000004
	ds_read_b32 v67, v4 offset:23072                           // 000000006D58: D86C5A20 43000004
	v_mfma_f32_16x16x32_fp8_fp8 v[160:163], a[4:5], v[128:129], 0// 000000006D60: D3F300A0 0A030104
	buffer_load_dwordx4 a[52:55], v36, s[12:15], 0 offen       // 000000006D68: E05C1000 80833424
	v_mfma_f32_16x16x32_fp8_fp8 v[160:163], a[6:7], v[130:131], v[160:163]// 000000006D70: D3F300A0 0E830506
	ds_read_b32 v68, v4 offset:18752                           // 000000006D78: D86C4940 44000004
	ds_read_b32 v69, v4 offset:23104                           // 000000006D80: D86C5A40 45000004
	v_mfma_f32_16x16x32_fp8_fp8 v[164:167], a[4:5], v[140:141], 0// 000000006D88: D3F300A4 0A031904
	v_mfma_f32_16x16x32_fp8_fp8 v[164:167], a[6:7], v[142:143], v[164:167]// 000000006D90: D3F300A4 0E931D06
	ds_read_b32 v70, v4 offset:18784                           // 000000006D98: D86C4960 46000004
	ds_read_b32 v71, v4 offset:23136                           // 000000006DA0: D86C5A60 47000004
	v_mfma_f32_16x16x32_fp8_fp8 v[168:171], a[8:9], v[128:129], 0// 000000006DA8: D3F300A8 0A030108
	buffer_load_dwordx4 a[56:59], v37, s[12:15], 0 offen       // 000000006DB0: E05C1000 80833825
	v_mfma_f32_16x16x32_fp8_fp8 v[168:171], a[10:11], v[130:131], v[168:171]// 000000006DB8: D3F300A8 0EA3050A
	ds_read_b32 v72, v4 offset:27392                           // 000000006DC0: D86C6B00 48000004
	ds_read_b32 v73, v4 offset:31744                           // 000000006DC8: D86C7C00 49000004
	v_mfma_f32_16x16x32_fp8_fp8 v[172:175], a[8:9], v[140:141], 0// 000000006DD0: D3F300AC 0A031908
	v_mfma_f32_16x16x32_fp8_fp8 v[172:175], a[10:11], v[142:143], v[172:175]// 000000006DD8: D3F300AC 0EB31D0A
	ds_read_b32 v74, v4 offset:27424                           // 000000006DE0: D86C6B20 4A000004
	ds_read_b32 v75, v4 offset:31776                           // 000000006DE8: D86C7C20 4B000004
	v_mfma_f32_16x16x32_fp8_fp8 v[176:179], a[12:13], v[128:129], 0// 000000006DF0: D3F300B0 0A03010C
	buffer_load_dwordx4 a[60:63], v38, s[12:15], 0 offen       // 000000006DF8: E05C1000 80833C26
	s_add_u32 s12, s78, s12                                    // 000000006E00: 800C0C4E
	s_addc_u32 s13, 0, s13                                     // 000000006E04: 820D0D80
	v_mfma_f32_16x16x32_fp8_fp8 v[176:179], a[14:15], v[130:131], v[176:179]// 000000006E08: D3F300B0 0EC3050E
	ds_read_b32 v76, v4 offset:27456                           // 000000006E10: D86C6B40 4C000004
	ds_read_b32 v77, v4 offset:31808                           // 000000006E18: D86C7C40 4D000004
	v_mfma_f32_16x16x32_fp8_fp8 v[180:183], a[12:13], v[140:141], 0// 000000006E20: D3F300B4 0A03190C
	v_mfma_f32_16x16x32_fp8_fp8 v[180:183], a[14:15], v[142:143], v[180:183]// 000000006E28: D3F300B4 0ED31D0E
	ds_read_b32 v78, v4 offset:27488                           // 000000006E30: D86C6B60 4E000004
	ds_read_b32 v79, v4 offset:31840                           // 000000006E38: D86C7C60 4F000004
	s_waitcnt vmcnt(9)                                         // 000000006E40: BF8C0F79
	v_mfma_f32_16x16x32_fp8_fp8 v[152:155], a[16:17], v[132:133], v[152:155]// 000000006E44: D3F30098 0E630910
	buffer_load_dwordx4 a[64:67], v35, s[12:15], 0 offen       // 000000006E4C: E05C1000 80834023
	v_mfma_f32_16x16x32_fp8_fp8 v[152:155], a[18:19], v[134:135], v[152:155]// 000000006E54: D3F30098 0E630D12
	v_mfma_f32_16x16x32_fp8_fp8 v[156:159], a[16:17], v[144:145], v[156:159]// 000000006E5C: D3F3009C 0E732110
	v_mfma_f32_16x16x32_fp8_fp8 v[156:159], a[18:19], v[146:147], v[156:159]// 000000006E64: D3F3009C 0E732512
	v_mfma_f32_16x16x32_fp8_fp8 v[160:163], a[20:21], v[132:133], v[160:163]// 000000006E6C: D3F300A0 0E830914
	buffer_load_dwordx4 a[68:71], v36, s[12:15], 0 offen       // 000000006E74: E05C1000 80834424
	v_mfma_f32_16x16x32_fp8_fp8 v[160:163], a[22:23], v[134:135], v[160:163]// 000000006E7C: D3F300A0 0E830D16
	v_mfma_f32_16x16x32_fp8_fp8 v[164:167], a[20:21], v[144:145], v[164:167]// 000000006E84: D3F300A4 0E932114
	v_mfma_f32_16x16x32_fp8_fp8 v[164:167], a[22:23], v[146:147], v[164:167]// 000000006E8C: D3F300A4 0E932516
	v_mfma_f32_16x16x32_fp8_fp8 v[168:171], a[24:25], v[132:133], v[168:171]// 000000006E94: D3F300A8 0EA30918
	buffer_load_dwordx4 a[72:75], v37, s[12:15], 0 offen       // 000000006E9C: E05C1000 80834825
	v_mfma_f32_16x16x32_fp8_fp8 v[168:171], a[26:27], v[134:135], v[168:171]// 000000006EA4: D3F300A8 0EA30D1A
	v_mfma_f32_16x16x32_fp8_fp8 v[172:175], a[24:25], v[144:145], v[172:175]// 000000006EAC: D3F300AC 0EB32118
	v_mfma_f32_16x16x32_fp8_fp8 v[172:175], a[26:27], v[146:147], v[172:175]// 000000006EB4: D3F300AC 0EB3251A
	v_mfma_f32_16x16x32_fp8_fp8 v[176:179], a[28:29], v[132:133], v[176:179]// 000000006EBC: D3F300B0 0EC3091C
	buffer_load_dwordx4 a[76:79], v38, s[12:15], 0 offen       // 000000006EC4: E05C1000 80834C26
	s_add_u32 s12, s78, s12                                    // 000000006ECC: 800C0C4E
	s_addc_u32 s13, 0, s13                                     // 000000006ED0: 820D0D80
	v_mfma_f32_16x16x32_fp8_fp8 v[176:179], a[30:31], v[134:135], v[176:179]// 000000006ED4: D3F300B0 0EC30D1E
	v_mfma_f32_16x16x32_fp8_fp8 v[180:183], a[28:29], v[144:145], v[180:183]// 000000006EDC: D3F300B4 0ED3211C
	v_mfma_f32_16x16x32_fp8_fp8 v[180:183], a[30:31], v[146:147], v[180:183]// 000000006EE4: D3F300B4 0ED3251E
	s_waitcnt vmcnt(8)                                         // 000000006EEC: BF8C0F78
	v_mfma_f32_16x16x32_fp8_fp8 v[152:155], a[32:33], v[136:137], v[152:155]// 000000006EF0: D3F30098 0E631120
	buffer_load_dwordx4 a[80:83], v35, s[12:15], 0 offen       // 000000006EF8: E05C1000 80835023
	v_mfma_f32_16x16x32_fp8_fp8 v[152:155], a[34:35], v[138:139], v[152:155]// 000000006F00: D3F30098 0E631522
	ds_write_b64 v3, v[184:185] offset:36096                   // 000000006F08: D89A8D00 0000B803
	v_mfma_f32_16x16x32_fp8_fp8 v[156:159], a[32:33], v[148:149], v[156:159]// 000000006F10: D3F3009C 0E732920
	buffer_load_dword v12, v5, s[16:19], 0 offen               // 000000006F18: E0501000 80040C05
	v_mfma_f32_16x16x32_fp8_fp8 v[156:159], a[34:35], v[150:151], v[156:159]// 000000006F20: D3F3009C 0E732D22
	ds_write_b64 v3, v[186:187] offset:44800                   // 000000006F28: D89AAF00 0000BA03
	v_mfma_f32_16x16x32_fp8_fp8 v[160:163], a[36:37], v[136:137], v[160:163]// 000000006F30: D3F300A0 0E831124
	buffer_load_dwordx4 a[84:87], v36, s[12:15], 0 offen       // 000000006F38: E05C1000 80835424
	v_mfma_f32_16x16x32_fp8_fp8 v[160:163], a[38:39], v[138:139], v[160:163]// 000000006F40: D3F300A0 0E831526
	ds_write_b64 v3, v[188:189] offset:38272                   // 000000006F48: D89A9580 0000BC03
	v_mfma_f32_16x16x32_fp8_fp8 v[164:167], a[36:37], v[148:149], v[164:167]// 000000006F50: D3F300A4 0E932924
	v_mfma_f32_16x16x32_fp8_fp8 v[164:167], a[38:39], v[150:151], v[164:167]// 000000006F58: D3F300A4 0E932D26
	ds_write_b64 v3, v[190:191] offset:46976                   // 000000006F60: D89AB780 0000BE03
	v_mfma_f32_16x16x32_fp8_fp8 v[168:171], a[40:41], v[136:137], v[168:171]// 000000006F68: D3F300A8 0EA31128
	buffer_load_dwordx4 a[88:91], v37, s[12:15], 0 offen       // 000000006F70: E05C1000 80835825
	v_mfma_f32_16x16x32_fp8_fp8 v[168:171], a[42:43], v[138:139], v[168:171]// 000000006F78: D3F300A8 0EA3152A
	ds_write_b64 v3, v[192:193] offset:40448                   // 000000006F80: D89A9E00 0000C003
	v_mfma_f32_16x16x32_fp8_fp8 v[172:175], a[40:41], v[148:149], v[172:175]// 000000006F88: D3F300AC 0EB32928
	v_mfma_f32_16x16x32_fp8_fp8 v[172:175], a[42:43], v[150:151], v[172:175]// 000000006F90: D3F300AC 0EB32D2A
	ds_write_b64 v3, v[194:195] offset:49152                   // 000000006F98: D89AC000 0000C203
	v_mfma_f32_16x16x32_fp8_fp8 v[176:179], a[44:45], v[136:137], v[176:179]// 000000006FA0: D3F300B0 0EC3112C
	buffer_load_dwordx4 a[92:95], v38, s[12:15], 0 offen       // 000000006FA8: E05C1000 80835C26
	v_mfma_f32_16x16x32_fp8_fp8 v[176:179], a[46:47], v[138:139], v[176:179]// 000000006FB0: D3F300B0 0EC3152E
	ds_write_b64 v3, v[196:197] offset:42624                   // 000000006FB8: D89AA680 0000C403
	v_mfma_f32_16x16x32_fp8_fp8 v[180:183], a[44:45], v[148:149], v[180:183]// 000000006FC0: D3F300B4 0ED3292C
	v_mfma_f32_16x16x32_fp8_fp8 v[180:183], a[46:47], v[150:151], v[180:183]// 000000006FC8: D3F300B4 0ED32D2E
	ds_write_b64 v3, v[198:199] offset:51328                   // 000000006FD0: D89AC880 0000C603
	s_add_u32 s60, 0x200, s80                                  // 000000006FD8: 803C50FF 00000200
	s_cmp_lt_u32 s60, s81                                      // 000000006FE0: BF0A513C
	s_cselect_b32 s56, s56, 0                                  // 000000006FE4: 85388038
	s_cselect_b32 s78, s78, 0                                  // 000000006FE8: 854E804E
	s_cselect_b32 s79, s79, 0                                  // 000000006FEC: 854F804F
	s_add_u32 s12, s56, s12                                    // 000000006FF0: 800C0C38
	s_addc_u32 s13, 0, s13                                     // 000000006FF4: 820D0D80
	s_add_u32 s16, s79, s16                                    // 000000006FF8: 8010104F
	s_addc_u32 s17, 0, s17                                     // 000000006FFC: 82111180
	v_mul_f32_e32 v152, v22, v152                              // 000000007000: 0B313116
	v_mul_f32_e32 v153, v22, v153                              // 000000007004: 0B333316
	v_mul_f32_e32 v154, v22, v154                              // 000000007008: 0B353516
	v_mul_f32_e32 v155, v22, v155                              // 00000000700C: 0B373716
	v_mul_f32_dpp v152, v11, v152 row_newbcast:0 row_mask:0xf bank_mask:0xf// 000000007010: 0B3130FA FF01500B
	v_mul_f32_dpp v153, v11, v153 row_newbcast:1 row_mask:0xf bank_mask:0xf// 000000007018: 0B3332FA FF01510B
	v_mul_f32_dpp v154, v11, v154 row_newbcast:2 row_mask:0xf bank_mask:0xf// 000000007020: 0B3534FA FF01520B
	v_mul_f32_dpp v155, v11, v155 row_newbcast:3 row_mask:0xf bank_mask:0xf// 000000007028: 0B3736FA FF01530B
	v_mul_f32_e32 v152, v17, v152                              // 000000007030: 0B313111
	v_mul_f32_e32 v153, v17, v153                              // 000000007034: 0B333311
	v_mul_f32_e32 v154, v17, v154                              // 000000007038: 0B353511
	v_mul_f32_e32 v155, v17, v155                              // 00000000703C: 0B373711
	v_mul_f32_e32 v156, v23, v156                              // 000000007040: 0B393917
	v_mul_f32_e32 v157, v23, v157                              // 000000007044: 0B3B3B17
	v_mul_f32_e32 v158, v23, v158                              // 000000007048: 0B3D3D17
	v_mul_f32_e32 v159, v23, v159                              // 00000000704C: 0B3F3F17
	v_mul_f32_dpp v156, v11, v156 row_newbcast:0 row_mask:0xf bank_mask:0xf// 000000007050: 0B3938FA FF01500B
	v_mul_f32_dpp v157, v11, v157 row_newbcast:1 row_mask:0xf bank_mask:0xf// 000000007058: 0B3B3AFA FF01510B
	v_mul_f32_dpp v158, v11, v158 row_newbcast:2 row_mask:0xf bank_mask:0xf// 000000007060: 0B3D3CFA FF01520B
	v_mul_f32_dpp v159, v11, v159 row_newbcast:3 row_mask:0xf bank_mask:0xf// 000000007068: 0B3F3EFA FF01530B
	v_mul_f32_e32 v156, v18, v156                              // 000000007070: 0B393912
	v_mul_f32_e32 v157, v18, v157                              // 000000007074: 0B3B3B12
	v_mul_f32_e32 v158, v18, v158                              // 000000007078: 0B3D3D12
	v_mul_f32_e32 v159, v18, v159                              // 00000000707C: 0B3F3F12
	v_mul_f32_e32 v160, v22, v160                              // 000000007080: 0B414116
	v_mul_f32_e32 v161, v22, v161                              // 000000007084: 0B434316
	v_mul_f32_e32 v162, v22, v162                              // 000000007088: 0B454516
	v_mul_f32_e32 v163, v22, v163                              // 00000000708C: 0B474716
	v_mul_f32_dpp v160, v11, v160 row_newbcast:4 row_mask:0xf bank_mask:0xf// 000000007090: 0B4140FA FF01540B
	v_mul_f32_dpp v161, v11, v161 row_newbcast:5 row_mask:0xf bank_mask:0xf// 000000007098: 0B4342FA FF01550B
	v_mul_f32_dpp v162, v11, v162 row_newbcast:6 row_mask:0xf bank_mask:0xf// 0000000070A0: 0B4544FA FF01560B
	v_mul_f32_dpp v163, v11, v163 row_newbcast:7 row_mask:0xf bank_mask:0xf// 0000000070A8: 0B4746FA FF01570B
	v_mul_f32_e32 v160, v17, v160                              // 0000000070B0: 0B414111
	v_mul_f32_e32 v161, v17, v161                              // 0000000070B4: 0B434311
	v_mul_f32_e32 v162, v17, v162                              // 0000000070B8: 0B454511
	v_mul_f32_e32 v163, v17, v163                              // 0000000070BC: 0B474711
	v_mul_f32_e32 v164, v23, v164                              // 0000000070C0: 0B494917
	v_mul_f32_e32 v165, v23, v165                              // 0000000070C4: 0B4B4B17
	v_mul_f32_e32 v166, v23, v166                              // 0000000070C8: 0B4D4D17
	v_mul_f32_e32 v167, v23, v167                              // 0000000070CC: 0B4F4F17
	v_mul_f32_dpp v164, v11, v164 row_newbcast:4 row_mask:0xf bank_mask:0xf// 0000000070D0: 0B4948FA FF01540B
	v_mul_f32_dpp v165, v11, v165 row_newbcast:5 row_mask:0xf bank_mask:0xf// 0000000070D8: 0B4B4AFA FF01550B
	v_mul_f32_dpp v166, v11, v166 row_newbcast:6 row_mask:0xf bank_mask:0xf// 0000000070E0: 0B4D4CFA FF01560B
	v_mul_f32_dpp v167, v11, v167 row_newbcast:7 row_mask:0xf bank_mask:0xf// 0000000070E8: 0B4F4EFA FF01570B
	v_mul_f32_e32 v164, v18, v164                              // 0000000070F0: 0B494912
	v_mul_f32_e32 v165, v18, v165                              // 0000000070F4: 0B4B4B12
	v_mul_f32_e32 v166, v18, v166                              // 0000000070F8: 0B4D4D12
	v_mul_f32_e32 v167, v18, v167                              // 0000000070FC: 0B4F4F12
	v_mul_f32_e32 v168, v22, v168                              // 000000007100: 0B515116
	v_mul_f32_e32 v169, v22, v169                              // 000000007104: 0B535316
	v_mul_f32_e32 v170, v22, v170                              // 000000007108: 0B555516
	v_mul_f32_e32 v171, v22, v171                              // 00000000710C: 0B575716
	v_mul_f32_dpp v168, v11, v168 row_newbcast:8 row_mask:0xf bank_mask:0xf// 000000007110: 0B5150FA FF01580B
	v_mul_f32_dpp v169, v11, v169 row_newbcast:9 row_mask:0xf bank_mask:0xf// 000000007118: 0B5352FA FF01590B
	v_mul_f32_dpp v170, v11, v170 row_newbcast:10 row_mask:0xf bank_mask:0xf// 000000007120: 0B5554FA FF015A0B
	v_mul_f32_dpp v171, v11, v171 row_newbcast:11 row_mask:0xf bank_mask:0xf// 000000007128: 0B5756FA FF015B0B
	v_mul_f32_e32 v168, v17, v168                              // 000000007130: 0B515111
	v_mul_f32_e32 v169, v17, v169                              // 000000007134: 0B535311
	v_mul_f32_e32 v170, v17, v170                              // 000000007138: 0B555511
	v_mul_f32_e32 v171, v17, v171                              // 00000000713C: 0B575711
	v_mul_f32_e32 v172, v23, v172                              // 000000007140: 0B595917
	v_mul_f32_e32 v173, v23, v173                              // 000000007144: 0B5B5B17
	v_mul_f32_e32 v174, v23, v174                              // 000000007148: 0B5D5D17
	v_mul_f32_e32 v175, v23, v175                              // 00000000714C: 0B5F5F17
	v_mul_f32_dpp v172, v11, v172 row_newbcast:8 row_mask:0xf bank_mask:0xf// 000000007150: 0B5958FA FF01580B
	v_mul_f32_dpp v173, v11, v173 row_newbcast:9 row_mask:0xf bank_mask:0xf// 000000007158: 0B5B5AFA FF01590B
	v_mul_f32_dpp v174, v11, v174 row_newbcast:10 row_mask:0xf bank_mask:0xf// 000000007160: 0B5D5CFA FF015A0B
	v_mul_f32_dpp v175, v11, v175 row_newbcast:11 row_mask:0xf bank_mask:0xf// 000000007168: 0B5F5EFA FF015B0B
	v_mul_f32_e32 v172, v18, v172                              // 000000007170: 0B595912
	v_mul_f32_e32 v173, v18, v173                              // 000000007174: 0B5B5B12
	v_mul_f32_e32 v174, v18, v174                              // 000000007178: 0B5D5D12
	v_mul_f32_e32 v175, v18, v175                              // 00000000717C: 0B5F5F12
	v_mul_f32_e32 v176, v22, v176                              // 000000007180: 0B616116
	v_mul_f32_e32 v177, v22, v177                              // 000000007184: 0B636316
	v_mul_f32_e32 v178, v22, v178                              // 000000007188: 0B656516
	v_mul_f32_e32 v179, v22, v179                              // 00000000718C: 0B676716
	v_mul_f32_dpp v176, v11, v176 row_newbcast:12 row_mask:0xf bank_mask:0xf// 000000007190: 0B6160FA FF015C0B
	v_mul_f32_dpp v177, v11, v177 row_newbcast:13 row_mask:0xf bank_mask:0xf// 000000007198: 0B6362FA FF015D0B
	v_mul_f32_dpp v178, v11, v178 row_newbcast:14 row_mask:0xf bank_mask:0xf// 0000000071A0: 0B6564FA FF015E0B
	v_mul_f32_dpp v179, v11, v179 row_newbcast:15 row_mask:0xf bank_mask:0xf// 0000000071A8: 0B6766FA FF015F0B
	v_mul_f32_e32 v176, v17, v176                              // 0000000071B0: 0B616111
	v_mul_f32_e32 v177, v17, v177                              // 0000000071B4: 0B636311
	v_mul_f32_e32 v178, v17, v178                              // 0000000071B8: 0B656511
	v_mul_f32_e32 v179, v17, v179                              // 0000000071BC: 0B676711
	v_mul_f32_e32 v180, v23, v180                              // 0000000071C0: 0B696917
	v_mul_f32_e32 v181, v23, v181                              // 0000000071C4: 0B6B6B17
	v_mul_f32_e32 v182, v23, v182                              // 0000000071C8: 0B6D6D17
	v_mul_f32_e32 v183, v23, v183                              // 0000000071CC: 0B6F6F17
	v_mul_f32_dpp v180, v11, v180 row_newbcast:12 row_mask:0xf bank_mask:0xf// 0000000071D0: 0B6968FA FF015C0B
	v_mul_f32_dpp v181, v11, v181 row_newbcast:13 row_mask:0xf bank_mask:0xf// 0000000071D8: 0B6B6AFA FF015D0B
	v_mul_f32_dpp v182, v11, v182 row_newbcast:14 row_mask:0xf bank_mask:0xf// 0000000071E0: 0B6D6CFA FF015E0B
	v_mul_f32_dpp v183, v11, v183 row_newbcast:15 row_mask:0xf bank_mask:0xf// 0000000071E8: 0B6F6EFA FF015F0B
	v_mul_f32_e32 v180, v18, v180                              // 0000000071F0: 0B696912
	v_mul_f32_e32 v181, v18, v181                              // 0000000071F4: 0B6B6B12
	v_mul_f32_e32 v182, v18, v182                              // 0000000071F8: 0B6D6D12
	v_mul_f32_e32 v183, v18, v183                              // 0000000071FC: 0B6F6F12
	v_cvt_pkrtz_f16_f32 v152, v152, v153                       // 000000007200: D2960098 00033398
	v_cvt_pkrtz_f16_f32 v153, v154, v155                       // 000000007208: D2960099 0003379A
	v_cvt_pkrtz_f16_f32 v154, v156, v157                       // 000000007210: D296009A 00033B9C
	v_cvt_pkrtz_f16_f32 v155, v158, v159                       // 000000007218: D296009B 00033F9E
	v_cvt_pkrtz_f16_f32 v156, v160, v161                       // 000000007220: D296009C 000343A0
	v_cvt_pkrtz_f16_f32 v157, v162, v163                       // 000000007228: D296009D 000347A2
	v_cvt_pkrtz_f16_f32 v158, v164, v165                       // 000000007230: D296009E 00034BA4
	v_cvt_pkrtz_f16_f32 v159, v166, v167                       // 000000007238: D296009F 00034FA6
	v_cvt_pkrtz_f16_f32 v160, v168, v169                       // 000000007240: D29600A0 000353A8
	v_cvt_pkrtz_f16_f32 v161, v170, v171                       // 000000007248: D29600A1 000357AA
	v_cvt_pkrtz_f16_f32 v162, v172, v173                       // 000000007250: D29600A2 00035BAC
	v_cvt_pkrtz_f16_f32 v163, v174, v175                       // 000000007258: D29600A3 00035FAE
	v_cvt_pkrtz_f16_f32 v164, v176, v177                       // 000000007260: D29600A4 000363B0
	v_cvt_pkrtz_f16_f32 v165, v178, v179                       // 000000007268: D29600A5 000367B2
	v_cvt_pkrtz_f16_f32 v166, v180, v181                       // 000000007270: D29600A6 00036BB4
	v_cvt_pkrtz_f16_f32 v167, v182, v183                       // 000000007278: D29600A7 00036FB6
	s_cmp_ge_u32 s80, 0x200                                    // 000000007280: BF09FF50 00000200
	s_cselect_b32 s59, 0x200, s59                              // 000000007288: 853B3BFF 00000200
	s_setvskip s20, 0                                          // 000000007290: BF108014
	global_atomic_pk_add_f16 v80, v64, s[8:9]                  // 000000007294: DD388000 00084050
	s_setvskip 0, 0                                            // 00000000729C: BF108080
	s_setvskip s20, 0                                          // 0000000072A0: BF108014
	global_atomic_pk_add_f16 v80, v65, s[8:9] offset:256       // 0000000072A4: DD388100 00084150
	s_setvskip 0, 0                                            // 0000000072AC: BF108080
	s_setvskip s20, 1                                          // 0000000072B0: BF108114
	global_atomic_pk_add_f16 v82, v66, s[8:9]                  // 0000000072B4: DD388000 00084252
	s_setvskip 0, 0                                            // 0000000072BC: BF108080
	s_setvskip s20, 1                                          // 0000000072C0: BF108114
	global_atomic_pk_add_f16 v82, v67, s[8:9] offset:256       // 0000000072C4: DD388100 00084352
	s_setvskip 0, 0                                            // 0000000072CC: BF108080
	s_setvskip s20, 2                                          // 0000000072D0: BF108214
	global_atomic_pk_add_f16 v84, v68, s[8:9]                  // 0000000072D4: DD388000 00084454
	s_setvskip 0, 0                                            // 0000000072DC: BF108080
	s_setvskip s20, 2                                          // 0000000072E0: BF108214
	global_atomic_pk_add_f16 v84, v69, s[8:9] offset:256       // 0000000072E4: DD388100 00084554
	s_setvskip 0, 0                                            // 0000000072EC: BF108080
	s_setvskip s20, 3                                          // 0000000072F0: BF108314
	global_atomic_pk_add_f16 v86, v70, s[8:9]                  // 0000000072F4: DD388000 00084656
	s_setvskip 0, 0                                            // 0000000072FC: BF108080
	s_setvskip s20, 3                                          // 000000007300: BF108314
	global_atomic_pk_add_f16 v86, v71, s[8:9] offset:256       // 000000007304: DD388100 00084756
	s_setvskip 0, 0                                            // 00000000730C: BF108080
	s_setvskip s20, 4                                          // 000000007310: BF108414
	global_atomic_pk_add_f16 v88, v72, s[8:9]                  // 000000007314: DD388000 00084858
	s_setvskip 0, 0                                            // 00000000731C: BF108080
	s_setvskip s20, 4                                          // 000000007320: BF108414
	global_atomic_pk_add_f16 v88, v73, s[8:9] offset:256       // 000000007324: DD388100 00084958
	s_setvskip 0, 0                                            // 00000000732C: BF108080
	s_setvskip s20, 5                                          // 000000007330: BF108514
	global_atomic_pk_add_f16 v90, v74, s[8:9]                  // 000000007334: DD388000 00084A5A
	s_setvskip 0, 0                                            // 00000000733C: BF108080
	s_setvskip s20, 5                                          // 000000007340: BF108514
	global_atomic_pk_add_f16 v90, v75, s[8:9] offset:256       // 000000007344: DD388100 00084B5A
	s_setvskip 0, 0                                            // 00000000734C: BF108080
	s_setvskip s20, 6                                          // 000000007350: BF108614
	global_atomic_pk_add_f16 v92, v76, s[8:9]                  // 000000007354: DD388000 00084C5C
	s_setvskip 0, 0                                            // 00000000735C: BF108080
	s_setvskip s20, 6                                          // 000000007360: BF108614
	global_atomic_pk_add_f16 v92, v77, s[8:9] offset:256       // 000000007364: DD388100 00084D5C
	s_setvskip 0, 0                                            // 00000000736C: BF108080
	s_setvskip s20, 7                                          // 000000007370: BF108714
	global_atomic_pk_add_f16 v94, v78, s[8:9]                  // 000000007374: DD388000 00084E5E
	s_setvskip 0, 0                                            // 00000000737C: BF108080
	s_setvskip s20, 7                                          // 000000007380: BF108714
	global_atomic_pk_add_f16 v94, v79, s[8:9] offset:256       // 000000007384: DD388100 00084F5E
	s_setvskip 0, 0                                            // 00000000738C: BF108080
	s_add_u32 s8, s59, s8                                      // 000000007390: 8008083B
	s_addc_u32 s9, 0, s9                                       // 000000007394: 82090980
	s_addk_i32 s80, 0x100                                      // 000000007398: B7500100
	s_cmp_lt_i32 s80, s81                                      // 00000000739C: BF045150
	s_cbranch_scc0 label_0A99                                  // 0000000073A0: BF84F930
	s_waitcnt vmcnt(9) lgkmcnt(0)                              // 0000000073A4: BF8C0079
	s_barrier                                                  // 0000000073A8: BF8A0000
	v_mfma_f32_16x16x32_fp8_fp8 v[184:187], a[48:49], v[128:129], 0// 0000000073AC: D3F300B8 0A030130
	buffer_load_dwordx4 a[0:3], v35, s[12:15], 0 offen         // 0000000073B4: E05C1000 80830023
	v_mfma_f32_16x16x32_fp8_fp8 v[184:187], a[50:51], v[130:131], v[184:187]// 0000000073BC: D3F300B8 0EE30532
	ds_read_b32 v64, v4 offset:36096                           // 0000000073C4: D86C8D00 40000004
	ds_read_b32 v65, v4 offset:40448                           // 0000000073CC: D86C9E00 41000004
	v_mfma_f32_16x16x32_fp8_fp8 v[188:191], a[48:49], v[140:141], 0// 0000000073D4: D3F300BC 0A031930
	v_mfma_f32_16x16x32_fp8_fp8 v[188:191], a[50:51], v[142:143], v[188:191]// 0000000073DC: D3F300BC 0EF31D32
	ds_read_b32 v66, v4 offset:36128                           // 0000000073E4: D86C8D20 42000004
	ds_read_b32 v67, v4 offset:40480                           // 0000000073EC: D86C9E20 43000004
	v_mfma_f32_16x16x32_fp8_fp8 v[192:195], a[52:53], v[128:129], 0// 0000000073F4: D3F300C0 0A030134
	buffer_load_dwordx4 a[4:7], v36, s[12:15], 0 offen         // 0000000073FC: E05C1000 80830424
	v_mfma_f32_16x16x32_fp8_fp8 v[192:195], a[54:55], v[130:131], v[192:195]// 000000007404: D3F300C0 0F030536
	ds_read_b32 v68, v4 offset:36160                           // 00000000740C: D86C8D40 44000004
	ds_read_b32 v69, v4 offset:40512                           // 000000007414: D86C9E40 45000004
	v_mfma_f32_16x16x32_fp8_fp8 v[196:199], a[52:53], v[140:141], 0// 00000000741C: D3F300C4 0A031934
	v_mfma_f32_16x16x32_fp8_fp8 v[196:199], a[54:55], v[142:143], v[196:199]// 000000007424: D3F300C4 0F131D36
	ds_read_b32 v70, v4 offset:36192                           // 00000000742C: D86C8D60 46000004
	ds_read_b32 v71, v4 offset:40544                           // 000000007434: D86C9E60 47000004
	v_mfma_f32_16x16x32_fp8_fp8 v[200:203], a[56:57], v[128:129], 0// 00000000743C: D3F300C8 0A030138
	buffer_load_dwordx4 a[8:11], v37, s[12:15], 0 offen        // 000000007444: E05C1000 80830825
	v_mfma_f32_16x16x32_fp8_fp8 v[200:203], a[58:59], v[130:131], v[200:203]// 00000000744C: D3F300C8 0F23053A
	ds_read_b32 v72, v4 offset:44800                           // 000000007454: D86CAF00 48000004
	ds_read_b32 v73, v4 offset:49152                           // 00000000745C: D86CC000 49000004
	v_mfma_f32_16x16x32_fp8_fp8 v[204:207], a[56:57], v[140:141], 0// 000000007464: D3F300CC 0A031938
	v_mfma_f32_16x16x32_fp8_fp8 v[204:207], a[58:59], v[142:143], v[204:207]// 00000000746C: D3F300CC 0F331D3A
	ds_read_b32 v74, v4 offset:44832                           // 000000007474: D86CAF20 4A000004
	ds_read_b32 v75, v4 offset:49184                           // 00000000747C: D86CC020 4B000004
	v_mfma_f32_16x16x32_fp8_fp8 v[208:211], a[60:61], v[128:129], 0// 000000007484: D3F300D0 0A03013C
	buffer_load_dwordx4 a[12:15], v38, s[12:15], 0 offen       // 00000000748C: E05C1000 80830C26
	s_add_u32 s12, s78, s12                                    // 000000007494: 800C0C4E
	s_addc_u32 s13, 0, s13                                     // 000000007498: 820D0D80
	v_mfma_f32_16x16x32_fp8_fp8 v[208:211], a[62:63], v[130:131], v[208:211]// 00000000749C: D3F300D0 0F43053E
	ds_read_b32 v76, v4 offset:44864                           // 0000000074A4: D86CAF40 4C000004
	ds_read_b32 v77, v4 offset:49216                           // 0000000074AC: D86CC040 4D000004
	v_mfma_f32_16x16x32_fp8_fp8 v[212:215], a[60:61], v[140:141], 0// 0000000074B4: D3F300D4 0A03193C
	v_mfma_f32_16x16x32_fp8_fp8 v[212:215], a[62:63], v[142:143], v[212:215]// 0000000074BC: D3F300D4 0F531D3E
	ds_read_b32 v78, v4 offset:44896                           // 0000000074C4: D86CAF60 4E000004
	ds_read_b32 v79, v4 offset:49248                           // 0000000074CC: D86CC060 4F000004
	s_waitcnt vmcnt(9)                                         // 0000000074D4: BF8C0F79
	v_mfma_f32_16x16x32_fp8_fp8 v[184:187], a[64:65], v[132:133], v[184:187]// 0000000074D8: D3F300B8 0EE30940
	buffer_load_dwordx4 a[16:19], v35, s[12:15], 0 offen       // 0000000074E0: E05C1000 80831023
	v_mfma_f32_16x16x32_fp8_fp8 v[184:187], a[66:67], v[134:135], v[184:187]// 0000000074E8: D3F300B8 0EE30D42
	v_mfma_f32_16x16x32_fp8_fp8 v[188:191], a[64:65], v[144:145], v[188:191]// 0000000074F0: D3F300BC 0EF32140
	v_mfma_f32_16x16x32_fp8_fp8 v[188:191], a[66:67], v[146:147], v[188:191]// 0000000074F8: D3F300BC 0EF32542
	v_mfma_f32_16x16x32_fp8_fp8 v[192:195], a[68:69], v[132:133], v[192:195]// 000000007500: D3F300C0 0F030944
	buffer_load_dwordx4 a[20:23], v36, s[12:15], 0 offen       // 000000007508: E05C1000 80831424
	v_mfma_f32_16x16x32_fp8_fp8 v[192:195], a[70:71], v[134:135], v[192:195]// 000000007510: D3F300C0 0F030D46
	v_mfma_f32_16x16x32_fp8_fp8 v[196:199], a[68:69], v[144:145], v[196:199]// 000000007518: D3F300C4 0F132144
	v_mfma_f32_16x16x32_fp8_fp8 v[196:199], a[70:71], v[146:147], v[196:199]// 000000007520: D3F300C4 0F132546
	v_mfma_f32_16x16x32_fp8_fp8 v[200:203], a[72:73], v[132:133], v[200:203]// 000000007528: D3F300C8 0F230948
	buffer_load_dwordx4 a[24:27], v37, s[12:15], 0 offen       // 000000007530: E05C1000 80831825
	v_mfma_f32_16x16x32_fp8_fp8 v[200:203], a[74:75], v[134:135], v[200:203]// 000000007538: D3F300C8 0F230D4A
	v_mfma_f32_16x16x32_fp8_fp8 v[204:207], a[72:73], v[144:145], v[204:207]// 000000007540: D3F300CC 0F332148
	v_mfma_f32_16x16x32_fp8_fp8 v[204:207], a[74:75], v[146:147], v[204:207]// 000000007548: D3F300CC 0F33254A
	v_mfma_f32_16x16x32_fp8_fp8 v[208:211], a[76:77], v[132:133], v[208:211]// 000000007550: D3F300D0 0F43094C
	buffer_load_dwordx4 a[28:31], v38, s[12:15], 0 offen       // 000000007558: E05C1000 80831C26
	s_add_u32 s12, s78, s12                                    // 000000007560: 800C0C4E
	s_addc_u32 s13, 0, s13                                     // 000000007564: 820D0D80
	v_mfma_f32_16x16x32_fp8_fp8 v[208:211], a[78:79], v[134:135], v[208:211]// 000000007568: D3F300D0 0F430D4E
	v_mfma_f32_16x16x32_fp8_fp8 v[212:215], a[76:77], v[144:145], v[212:215]// 000000007570: D3F300D4 0F53214C
	v_mfma_f32_16x16x32_fp8_fp8 v[212:215], a[78:79], v[146:147], v[212:215]// 000000007578: D3F300D4 0F53254E
	s_waitcnt vmcnt(8)                                         // 000000007580: BF8C0F78
	v_mfma_f32_16x16x32_fp8_fp8 v[184:187], a[80:81], v[136:137], v[184:187]// 000000007584: D3F300B8 0EE31150
	buffer_load_dwordx4 a[32:35], v35, s[12:15], 0 offen       // 00000000758C: E05C1000 80832023
	v_mfma_f32_16x16x32_fp8_fp8 v[184:187], a[82:83], v[138:139], v[184:187]// 000000007594: D3F300B8 0EE31552
	ds_write_b64 v3, v[152:153] offset:18688                   // 00000000759C: D89A4900 00009803
	v_mfma_f32_16x16x32_fp8_fp8 v[188:191], a[80:81], v[148:149], v[188:191]// 0000000075A4: D3F300BC 0EF32950
	buffer_load_dword v11, v5, s[16:19], 0 offen               // 0000000075AC: E0501000 80040B05
	v_mfma_f32_16x16x32_fp8_fp8 v[188:191], a[82:83], v[150:151], v[188:191]// 0000000075B4: D3F300BC 0EF32D52
	ds_write_b64 v3, v[154:155] offset:27392                   // 0000000075BC: D89A6B00 00009A03
	v_mfma_f32_16x16x32_fp8_fp8 v[192:195], a[84:85], v[136:137], v[192:195]// 0000000075C4: D3F300C0 0F031154
	buffer_load_dwordx4 a[36:39], v36, s[12:15], 0 offen       // 0000000075CC: E05C1000 80832424
	v_mfma_f32_16x16x32_fp8_fp8 v[192:195], a[86:87], v[138:139], v[192:195]// 0000000075D4: D3F300C0 0F031556
	ds_write_b64 v3, v[156:157] offset:20864                   // 0000000075DC: D89A5180 00009C03
	v_mfma_f32_16x16x32_fp8_fp8 v[196:199], a[84:85], v[148:149], v[196:199]// 0000000075E4: D3F300C4 0F132954
	v_mfma_f32_16x16x32_fp8_fp8 v[196:199], a[86:87], v[150:151], v[196:199]// 0000000075EC: D3F300C4 0F132D56
	ds_write_b64 v3, v[158:159] offset:29568                   // 0000000075F4: D89A7380 00009E03
	v_mfma_f32_16x16x32_fp8_fp8 v[200:203], a[88:89], v[136:137], v[200:203]// 0000000075FC: D3F300C8 0F231158
	buffer_load_dwordx4 a[40:43], v37, s[12:15], 0 offen       // 000000007604: E05C1000 80832825
	v_mfma_f32_16x16x32_fp8_fp8 v[200:203], a[90:91], v[138:139], v[200:203]// 00000000760C: D3F300C8 0F23155A
	ds_write_b64 v3, v[160:161] offset:23040                   // 000000007614: D89A5A00 0000A003
	v_mfma_f32_16x16x32_fp8_fp8 v[204:207], a[88:89], v[148:149], v[204:207]// 00000000761C: D3F300CC 0F332958
	v_mfma_f32_16x16x32_fp8_fp8 v[204:207], a[90:91], v[150:151], v[204:207]// 000000007624: D3F300CC 0F332D5A
	ds_write_b64 v3, v[162:163] offset:31744                   // 00000000762C: D89A7C00 0000A203
	v_mfma_f32_16x16x32_fp8_fp8 v[208:211], a[92:93], v[136:137], v[208:211]// 000000007634: D3F300D0 0F43115C
	buffer_load_dwordx4 a[44:47], v38, s[12:15], 0 offen       // 00000000763C: E05C1000 80832C26
	v_mfma_f32_16x16x32_fp8_fp8 v[208:211], a[94:95], v[138:139], v[208:211]// 000000007644: D3F300D0 0F43155E
	ds_write_b64 v3, v[164:165] offset:25216                   // 00000000764C: D89A6280 0000A403
	v_mfma_f32_16x16x32_fp8_fp8 v[212:215], a[92:93], v[148:149], v[212:215]// 000000007654: D3F300D4 0F53295C
	v_mfma_f32_16x16x32_fp8_fp8 v[212:215], a[94:95], v[150:151], v[212:215]// 00000000765C: D3F300D4 0F532D5E
	ds_write_b64 v3, v[166:167] offset:33920                   // 000000007664: D89A8480 0000A603
	s_add_u32 s60, 0x200, s80                                  // 00000000766C: 803C50FF 00000200
	s_cmp_lt_u32 s60, s81                                      // 000000007674: BF0A513C
	s_cselect_b32 s56, s56, 0                                  // 000000007678: 85388038
	s_cselect_b32 s78, s78, 0                                  // 00000000767C: 854E804E
	s_cselect_b32 s79, s79, 0                                  // 000000007680: 854F804F
	s_add_u32 s12, s56, s12                                    // 000000007684: 800C0C38
	s_addc_u32 s13, 0, s13                                     // 000000007688: 820D0D80
	s_add_u32 s16, s79, s16                                    // 00000000768C: 8010104F
	s_addc_u32 s17, 0, s17                                     // 000000007690: 82111180
	v_mul_f32_e32 v184, v22, v184                              // 000000007694: 0B717116
	v_mul_f32_e32 v185, v22, v185                              // 000000007698: 0B737316
	v_mul_f32_e32 v186, v22, v186                              // 00000000769C: 0B757516
	v_mul_f32_e32 v187, v22, v187                              // 0000000076A0: 0B777716
	v_mul_f32_dpp v184, v12, v184 row_newbcast:0 row_mask:0xf bank_mask:0xf// 0000000076A4: 0B7170FA FF01500C
	v_mul_f32_dpp v185, v12, v185 row_newbcast:1 row_mask:0xf bank_mask:0xf// 0000000076AC: 0B7372FA FF01510C
	v_mul_f32_dpp v186, v12, v186 row_newbcast:2 row_mask:0xf bank_mask:0xf// 0000000076B4: 0B7574FA FF01520C
	v_mul_f32_dpp v187, v12, v187 row_newbcast:3 row_mask:0xf bank_mask:0xf// 0000000076BC: 0B7776FA FF01530C
	v_mul_f32_e32 v184, v17, v184                              // 0000000076C4: 0B717111
	v_mul_f32_e32 v185, v17, v185                              // 0000000076C8: 0B737311
	v_mul_f32_e32 v186, v17, v186                              // 0000000076CC: 0B757511
	v_mul_f32_e32 v187, v17, v187                              // 0000000076D0: 0B777711
	v_mul_f32_e32 v188, v23, v188                              // 0000000076D4: 0B797917
	v_mul_f32_e32 v189, v23, v189                              // 0000000076D8: 0B7B7B17
	v_mul_f32_e32 v190, v23, v190                              // 0000000076DC: 0B7D7D17
	v_mul_f32_e32 v191, v23, v191                              // 0000000076E0: 0B7F7F17
	v_mul_f32_dpp v188, v12, v188 row_newbcast:0 row_mask:0xf bank_mask:0xf// 0000000076E4: 0B7978FA FF01500C
	v_mul_f32_dpp v189, v12, v189 row_newbcast:1 row_mask:0xf bank_mask:0xf// 0000000076EC: 0B7B7AFA FF01510C
	v_mul_f32_dpp v190, v12, v190 row_newbcast:2 row_mask:0xf bank_mask:0xf// 0000000076F4: 0B7D7CFA FF01520C
	v_mul_f32_dpp v191, v12, v191 row_newbcast:3 row_mask:0xf bank_mask:0xf// 0000000076FC: 0B7F7EFA FF01530C
	v_mul_f32_e32 v188, v18, v188                              // 000000007704: 0B797912
	v_mul_f32_e32 v189, v18, v189                              // 000000007708: 0B7B7B12
	v_mul_f32_e32 v190, v18, v190                              // 00000000770C: 0B7D7D12
	v_mul_f32_e32 v191, v18, v191                              // 000000007710: 0B7F7F12
	v_mul_f32_e32 v192, v22, v192                              // 000000007714: 0B818116
	v_mul_f32_e32 v193, v22, v193                              // 000000007718: 0B838316
	v_mul_f32_e32 v194, v22, v194                              // 00000000771C: 0B858516
	v_mul_f32_e32 v195, v22, v195                              // 000000007720: 0B878716
	v_mul_f32_dpp v192, v12, v192 row_newbcast:4 row_mask:0xf bank_mask:0xf// 000000007724: 0B8180FA FF01540C
	v_mul_f32_dpp v193, v12, v193 row_newbcast:5 row_mask:0xf bank_mask:0xf// 00000000772C: 0B8382FA FF01550C
	v_mul_f32_dpp v194, v12, v194 row_newbcast:6 row_mask:0xf bank_mask:0xf// 000000007734: 0B8584FA FF01560C
	v_mul_f32_dpp v195, v12, v195 row_newbcast:7 row_mask:0xf bank_mask:0xf// 00000000773C: 0B8786FA FF01570C
	v_mul_f32_e32 v192, v17, v192                              // 000000007744: 0B818111
	v_mul_f32_e32 v193, v17, v193                              // 000000007748: 0B838311
	v_mul_f32_e32 v194, v17, v194                              // 00000000774C: 0B858511
	v_mul_f32_e32 v195, v17, v195                              // 000000007750: 0B878711
	v_mul_f32_e32 v196, v23, v196                              // 000000007754: 0B898917
	v_mul_f32_e32 v197, v23, v197                              // 000000007758: 0B8B8B17
	v_mul_f32_e32 v198, v23, v198                              // 00000000775C: 0B8D8D17
	v_mul_f32_e32 v199, v23, v199                              // 000000007760: 0B8F8F17
	v_mul_f32_dpp v196, v12, v196 row_newbcast:4 row_mask:0xf bank_mask:0xf// 000000007764: 0B8988FA FF01540C
	v_mul_f32_dpp v197, v12, v197 row_newbcast:5 row_mask:0xf bank_mask:0xf// 00000000776C: 0B8B8AFA FF01550C
	v_mul_f32_dpp v198, v12, v198 row_newbcast:6 row_mask:0xf bank_mask:0xf// 000000007774: 0B8D8CFA FF01560C
	v_mul_f32_dpp v199, v12, v199 row_newbcast:7 row_mask:0xf bank_mask:0xf// 00000000777C: 0B8F8EFA FF01570C
	v_mul_f32_e32 v196, v18, v196                              // 000000007784: 0B898912
	v_mul_f32_e32 v197, v18, v197                              // 000000007788: 0B8B8B12
	v_mul_f32_e32 v198, v18, v198                              // 00000000778C: 0B8D8D12
	v_mul_f32_e32 v199, v18, v199                              // 000000007790: 0B8F8F12
	v_mul_f32_e32 v200, v22, v200                              // 000000007794: 0B919116
	v_mul_f32_e32 v201, v22, v201                              // 000000007798: 0B939316
	v_mul_f32_e32 v202, v22, v202                              // 00000000779C: 0B959516
	v_mul_f32_e32 v203, v22, v203                              // 0000000077A0: 0B979716
	v_mul_f32_dpp v200, v12, v200 row_newbcast:8 row_mask:0xf bank_mask:0xf// 0000000077A4: 0B9190FA FF01580C
	v_mul_f32_dpp v201, v12, v201 row_newbcast:9 row_mask:0xf bank_mask:0xf// 0000000077AC: 0B9392FA FF01590C
	v_mul_f32_dpp v202, v12, v202 row_newbcast:10 row_mask:0xf bank_mask:0xf// 0000000077B4: 0B9594FA FF015A0C
	v_mul_f32_dpp v203, v12, v203 row_newbcast:11 row_mask:0xf bank_mask:0xf// 0000000077BC: 0B9796FA FF015B0C
	v_mul_f32_e32 v200, v17, v200                              // 0000000077C4: 0B919111
	v_mul_f32_e32 v201, v17, v201                              // 0000000077C8: 0B939311
	v_mul_f32_e32 v202, v17, v202                              // 0000000077CC: 0B959511
	v_mul_f32_e32 v203, v17, v203                              // 0000000077D0: 0B979711
	v_mul_f32_e32 v204, v23, v204                              // 0000000077D4: 0B999917
	v_mul_f32_e32 v205, v23, v205                              // 0000000077D8: 0B9B9B17
	v_mul_f32_e32 v206, v23, v206                              // 0000000077DC: 0B9D9D17
	v_mul_f32_e32 v207, v23, v207                              // 0000000077E0: 0B9F9F17
	v_mul_f32_dpp v204, v12, v204 row_newbcast:8 row_mask:0xf bank_mask:0xf// 0000000077E4: 0B9998FA FF01580C
	v_mul_f32_dpp v205, v12, v205 row_newbcast:9 row_mask:0xf bank_mask:0xf// 0000000077EC: 0B9B9AFA FF01590C
	v_mul_f32_dpp v206, v12, v206 row_newbcast:10 row_mask:0xf bank_mask:0xf// 0000000077F4: 0B9D9CFA FF015A0C
	v_mul_f32_dpp v207, v12, v207 row_newbcast:11 row_mask:0xf bank_mask:0xf// 0000000077FC: 0B9F9EFA FF015B0C
	v_mul_f32_e32 v204, v18, v204                              // 000000007804: 0B999912
	v_mul_f32_e32 v205, v18, v205                              // 000000007808: 0B9B9B12
	v_mul_f32_e32 v206, v18, v206                              // 00000000780C: 0B9D9D12
	v_mul_f32_e32 v207, v18, v207                              // 000000007810: 0B9F9F12
	v_mul_f32_e32 v208, v22, v208                              // 000000007814: 0BA1A116
	v_mul_f32_e32 v209, v22, v209                              // 000000007818: 0BA3A316
	v_mul_f32_e32 v210, v22, v210                              // 00000000781C: 0BA5A516
	v_mul_f32_e32 v211, v22, v211                              // 000000007820: 0BA7A716
	v_mul_f32_dpp v208, v12, v208 row_newbcast:12 row_mask:0xf bank_mask:0xf// 000000007824: 0BA1A0FA FF015C0C
	v_mul_f32_dpp v209, v12, v209 row_newbcast:13 row_mask:0xf bank_mask:0xf// 00000000782C: 0BA3A2FA FF015D0C
	v_mul_f32_dpp v210, v12, v210 row_newbcast:14 row_mask:0xf bank_mask:0xf// 000000007834: 0BA5A4FA FF015E0C
	v_mul_f32_dpp v211, v12, v211 row_newbcast:15 row_mask:0xf bank_mask:0xf// 00000000783C: 0BA7A6FA FF015F0C
	v_mul_f32_e32 v208, v17, v208                              // 000000007844: 0BA1A111
	v_mul_f32_e32 v209, v17, v209                              // 000000007848: 0BA3A311
	v_mul_f32_e32 v210, v17, v210                              // 00000000784C: 0BA5A511
	v_mul_f32_e32 v211, v17, v211                              // 000000007850: 0BA7A711
	v_mul_f32_e32 v212, v23, v212                              // 000000007854: 0BA9A917
	v_mul_f32_e32 v213, v23, v213                              // 000000007858: 0BABAB17
	v_mul_f32_e32 v214, v23, v214                              // 00000000785C: 0BADAD17
	v_mul_f32_e32 v215, v23, v215                              // 000000007860: 0BAFAF17
	v_mul_f32_dpp v212, v12, v212 row_newbcast:12 row_mask:0xf bank_mask:0xf// 000000007864: 0BA9A8FA FF015C0C
	v_mul_f32_dpp v213, v12, v213 row_newbcast:13 row_mask:0xf bank_mask:0xf// 00000000786C: 0BABAAFA FF015D0C
	v_mul_f32_dpp v214, v12, v214 row_newbcast:14 row_mask:0xf bank_mask:0xf// 000000007874: 0BADACFA FF015E0C
	v_mul_f32_dpp v215, v12, v215 row_newbcast:15 row_mask:0xf bank_mask:0xf// 00000000787C: 0BAFAEFA FF015F0C
	v_mul_f32_e32 v212, v18, v212                              // 000000007884: 0BA9A912
	v_mul_f32_e32 v213, v18, v213                              // 000000007888: 0BABAB12
	v_mul_f32_e32 v214, v18, v214                              // 00000000788C: 0BADAD12
	v_mul_f32_e32 v215, v18, v215                              // 000000007890: 0BAFAF12
	v_cvt_pkrtz_f16_f32 v184, v184, v185                       // 000000007894: D29600B8 000373B8
	v_cvt_pkrtz_f16_f32 v185, v186, v187                       // 00000000789C: D29600B9 000377BA
	v_cvt_pkrtz_f16_f32 v186, v188, v189                       // 0000000078A4: D29600BA 00037BBC
	v_cvt_pkrtz_f16_f32 v187, v190, v191                       // 0000000078AC: D29600BB 00037FBE
	v_cvt_pkrtz_f16_f32 v188, v192, v193                       // 0000000078B4: D29600BC 000383C0
	v_cvt_pkrtz_f16_f32 v189, v194, v195                       // 0000000078BC: D29600BD 000387C2
	v_cvt_pkrtz_f16_f32 v190, v196, v197                       // 0000000078C4: D29600BE 00038BC4
	v_cvt_pkrtz_f16_f32 v191, v198, v199                       // 0000000078CC: D29600BF 00038FC6
	v_cvt_pkrtz_f16_f32 v192, v200, v201                       // 0000000078D4: D29600C0 000393C8
	v_cvt_pkrtz_f16_f32 v193, v202, v203                       // 0000000078DC: D29600C1 000397CA
	v_cvt_pkrtz_f16_f32 v194, v204, v205                       // 0000000078E4: D29600C2 00039BCC
	v_cvt_pkrtz_f16_f32 v195, v206, v207                       // 0000000078EC: D29600C3 00039FCE
	v_cvt_pkrtz_f16_f32 v196, v208, v209                       // 0000000078F4: D29600C4 0003A3D0
	v_cvt_pkrtz_f16_f32 v197, v210, v211                       // 0000000078FC: D29600C5 0003A7D2
	v_cvt_pkrtz_f16_f32 v198, v212, v213                       // 000000007904: D29600C6 0003ABD4
	v_cvt_pkrtz_f16_f32 v199, v214, v215                       // 00000000790C: D29600C7 0003AFD6
	s_cmp_ge_u32 s80, 0x200                                    // 000000007914: BF09FF50 00000200
	s_cselect_b32 s59, 0x200, s59                              // 00000000791C: 853B3BFF 00000200
	s_setvskip s20, 0                                          // 000000007924: BF108014
	global_atomic_pk_add_f16 v80, v64, s[8:9]                  // 000000007928: DD388000 00084050
	s_setvskip 0, 0                                            // 000000007930: BF108080
	s_setvskip s20, 0                                          // 000000007934: BF108014
	global_atomic_pk_add_f16 v80, v65, s[8:9] offset:256       // 000000007938: DD388100 00084150
	s_setvskip 0, 0                                            // 000000007940: BF108080
	s_setvskip s20, 1                                          // 000000007944: BF108114
	global_atomic_pk_add_f16 v82, v66, s[8:9]                  // 000000007948: DD388000 00084252
	s_setvskip 0, 0                                            // 000000007950: BF108080
	s_setvskip s20, 1                                          // 000000007954: BF108114
	global_atomic_pk_add_f16 v82, v67, s[8:9] offset:256       // 000000007958: DD388100 00084352
	s_setvskip 0, 0                                            // 000000007960: BF108080
	s_setvskip s20, 2                                          // 000000007964: BF108214
	global_atomic_pk_add_f16 v84, v68, s[8:9]                  // 000000007968: DD388000 00084454
	s_setvskip 0, 0                                            // 000000007970: BF108080
	s_setvskip s20, 2                                          // 000000007974: BF108214
	global_atomic_pk_add_f16 v84, v69, s[8:9] offset:256       // 000000007978: DD388100 00084554
	s_setvskip 0, 0                                            // 000000007980: BF108080
	s_setvskip s20, 3                                          // 000000007984: BF108314
	global_atomic_pk_add_f16 v86, v70, s[8:9]                  // 000000007988: DD388000 00084656
	s_setvskip 0, 0                                            // 000000007990: BF108080
	s_setvskip s20, 3                                          // 000000007994: BF108314
	global_atomic_pk_add_f16 v86, v71, s[8:9] offset:256       // 000000007998: DD388100 00084756
	s_setvskip 0, 0                                            // 0000000079A0: BF108080
	s_setvskip s20, 4                                          // 0000000079A4: BF108414
	global_atomic_pk_add_f16 v88, v72, s[8:9]                  // 0000000079A8: DD388000 00084858
	s_setvskip 0, 0                                            // 0000000079B0: BF108080
	s_setvskip s20, 4                                          // 0000000079B4: BF108414
	global_atomic_pk_add_f16 v88, v73, s[8:9] offset:256       // 0000000079B8: DD388100 00084958
	s_setvskip 0, 0                                            // 0000000079C0: BF108080
	s_setvskip s20, 5                                          // 0000000079C4: BF108514
	global_atomic_pk_add_f16 v90, v74, s[8:9]                  // 0000000079C8: DD388000 00084A5A
	s_setvskip 0, 0                                            // 0000000079D0: BF108080
	s_setvskip s20, 5                                          // 0000000079D4: BF108514
	global_atomic_pk_add_f16 v90, v75, s[8:9] offset:256       // 0000000079D8: DD388100 00084B5A
	s_setvskip 0, 0                                            // 0000000079E0: BF108080
	s_setvskip s20, 6                                          // 0000000079E4: BF108614
	global_atomic_pk_add_f16 v92, v76, s[8:9]                  // 0000000079E8: DD388000 00084C5C
	s_setvskip 0, 0                                            // 0000000079F0: BF108080
	s_setvskip s20, 6                                          // 0000000079F4: BF108614
	global_atomic_pk_add_f16 v92, v77, s[8:9] offset:256       // 0000000079F8: DD388100 00084D5C
	s_setvskip 0, 0                                            // 000000007A00: BF108080
	s_setvskip s20, 7                                          // 000000007A04: BF108714
	global_atomic_pk_add_f16 v94, v78, s[8:9]                  // 000000007A08: DD388000 00084E5E
	s_setvskip 0, 0                                            // 000000007A10: BF108080
	s_setvskip s20, 7                                          // 000000007A14: BF108714
	global_atomic_pk_add_f16 v94, v79, s[8:9] offset:256       // 000000007A18: DD388100 00084F5E
	s_setvskip 0, 0                                            // 000000007A20: BF108080
	s_add_u32 s8, s59, s8                                      // 000000007A24: 8008083B
	s_addc_u32 s9, 0, s9                                       // 000000007A28: 82090980
	s_addk_i32 s80, 0x100                                      // 000000007A2C: B7500100
	s_cmp_lt_i32 s80, s81                                      // 000000007A30: BF045150
	s_cbranch_scc0 label_0A99                                  // 000000007A34: BF84F78B
	s_branch label_0FC4                                        // 000000007A38: BF82FCB5

0000000000007a3c <label_130F>:
	s_cmp_ge_u32 s59, 0                                        // 000000007A3C: BF09803B
	s_cselect_b32 s59, 0x200, s59                              // 000000007A40: 853B3BFF 00000200
	s_waitcnt lgkmcnt(0)                                       // 000000007A48: BF8CC07F
	s_barrier                                                  // 000000007A4C: BF8A0000
	s_cmp_eq_u32 s64, 0x100                                    // 000000007A50: BF06FF40 00000100
	s_cbranch_scc0 label_138B                                  // 000000007A58: BF840074
	ds_write_b64 v3, v[152:153] offset:18688                   // 000000007A5C: D89A4900 00009803
	ds_write_b64 v3, v[154:155] offset:27392                   // 000000007A64: D89A6B00 00009A03
	ds_write_b64 v3, v[156:157] offset:20864                   // 000000007A6C: D89A5180 00009C03
	ds_write_b64 v3, v[158:159] offset:29568                   // 000000007A74: D89A7380 00009E03
	ds_write_b64 v3, v[160:161] offset:23040                   // 000000007A7C: D89A5A00 0000A003
	ds_write_b64 v3, v[162:163] offset:31744                   // 000000007A84: D89A7C00 0000A203
	ds_write_b64 v3, v[164:165] offset:25216                   // 000000007A8C: D89A6280 0000A403
	ds_write_b64 v3, v[166:167] offset:33920                   // 000000007A94: D89A8480 0000A603
	s_waitcnt lgkmcnt(0)                                       // 000000007A9C: BF8CC07F
	s_barrier                                                  // 000000007AA0: BF8A0000
	ds_read_b32 v64, v4 offset:18688                           // 000000007AA4: D86C4900 40000004
	ds_read_b32 v65, v4 offset:23040                           // 000000007AAC: D86C5A00 41000004
	ds_read_b32 v66, v4 offset:18720                           // 000000007AB4: D86C4920 42000004
	ds_read_b32 v67, v4 offset:23072                           // 000000007ABC: D86C5A20 43000004
	ds_read_b32 v68, v4 offset:18752                           // 000000007AC4: D86C4940 44000004
	ds_read_b32 v69, v4 offset:23104                           // 000000007ACC: D86C5A40 45000004
	ds_read_b32 v70, v4 offset:18784                           // 000000007AD4: D86C4960 46000004
	ds_read_b32 v71, v4 offset:23136                           // 000000007ADC: D86C5A60 47000004
	ds_read_b32 v72, v4 offset:27392                           // 000000007AE4: D86C6B00 48000004
	ds_read_b32 v73, v4 offset:31744                           // 000000007AEC: D86C7C00 49000004
	ds_read_b32 v74, v4 offset:27424                           // 000000007AF4: D86C6B20 4A000004
	ds_read_b32 v75, v4 offset:31776                           // 000000007AFC: D86C7C20 4B000004
	ds_read_b32 v76, v4 offset:27456                           // 000000007B04: D86C6B40 4C000004
	ds_read_b32 v77, v4 offset:31808                           // 000000007B0C: D86C7C40 4D000004
	ds_read_b32 v78, v4 offset:27488                           // 000000007B14: D86C6B60 4E000004
	ds_read_b32 v79, v4 offset:31840                           // 000000007B1C: D86C7C60 4F000004
	s_waitcnt lgkmcnt(0)                                       // 000000007B24: BF8CC07F
	s_setvskip s20, 0                                          // 000000007B28: BF108014
	global_atomic_pk_add_f16 v80, v64, s[8:9]                  // 000000007B2C: DD388000 00084050
	s_setvskip 0, 0                                            // 000000007B34: BF108080
	s_setvskip s20, 0                                          // 000000007B38: BF108014
	global_atomic_pk_add_f16 v80, v65, s[8:9] offset:256       // 000000007B3C: DD388100 00084150
	s_setvskip 0, 0                                            // 000000007B44: BF108080
	s_setvskip s20, 1                                          // 000000007B48: BF108114
	global_atomic_pk_add_f16 v82, v66, s[8:9]                  // 000000007B4C: DD388000 00084252
	s_setvskip 0, 0                                            // 000000007B54: BF108080
	s_setvskip s20, 1                                          // 000000007B58: BF108114
	global_atomic_pk_add_f16 v82, v67, s[8:9] offset:256       // 000000007B5C: DD388100 00084352
	s_setvskip 0, 0                                            // 000000007B64: BF108080
	s_setvskip s20, 2                                          // 000000007B68: BF108214
	global_atomic_pk_add_f16 v84, v68, s[8:9]                  // 000000007B6C: DD388000 00084454
	s_setvskip 0, 0                                            // 000000007B74: BF108080
	s_setvskip s20, 2                                          // 000000007B78: BF108214
	global_atomic_pk_add_f16 v84, v69, s[8:9] offset:256       // 000000007B7C: DD388100 00084554
	s_setvskip 0, 0                                            // 000000007B84: BF108080
	s_setvskip s20, 3                                          // 000000007B88: BF108314
	global_atomic_pk_add_f16 v86, v70, s[8:9]                  // 000000007B8C: DD388000 00084656
	s_setvskip 0, 0                                            // 000000007B94: BF108080
	s_setvskip s20, 3                                          // 000000007B98: BF108314
	global_atomic_pk_add_f16 v86, v71, s[8:9] offset:256       // 000000007B9C: DD388100 00084756
	s_setvskip 0, 0                                            // 000000007BA4: BF108080
	s_setvskip s20, 4                                          // 000000007BA8: BF108414
	global_atomic_pk_add_f16 v88, v72, s[8:9]                  // 000000007BAC: DD388000 00084858
	s_setvskip 0, 0                                            // 000000007BB4: BF108080
	s_setvskip s20, 4                                          // 000000007BB8: BF108414
	global_atomic_pk_add_f16 v88, v73, s[8:9] offset:256       // 000000007BBC: DD388100 00084958
	s_setvskip 0, 0                                            // 000000007BC4: BF108080
	s_setvskip s20, 5                                          // 000000007BC8: BF108514
	global_atomic_pk_add_f16 v90, v74, s[8:9]                  // 000000007BCC: DD388000 00084A5A
	s_setvskip 0, 0                                            // 000000007BD4: BF108080
	s_setvskip s20, 5                                          // 000000007BD8: BF108514
	global_atomic_pk_add_f16 v90, v75, s[8:9] offset:256       // 000000007BDC: DD388100 00084B5A
	s_setvskip 0, 0                                            // 000000007BE4: BF108080
	s_setvskip s20, 6                                          // 000000007BE8: BF108614
	global_atomic_pk_add_f16 v92, v76, s[8:9]                  // 000000007BEC: DD388000 00084C5C
	s_setvskip 0, 0                                            // 000000007BF4: BF108080
	s_setvskip s20, 6                                          // 000000007BF8: BF108614
	global_atomic_pk_add_f16 v92, v77, s[8:9] offset:256       // 000000007BFC: DD388100 00084D5C
	s_setvskip 0, 0                                            // 000000007C04: BF108080
	s_setvskip s20, 7                                          // 000000007C08: BF108714
	global_atomic_pk_add_f16 v94, v78, s[8:9]                  // 000000007C0C: DD388000 00084E5E
	s_setvskip 0, 0                                            // 000000007C14: BF108080
	s_setvskip s20, 7                                          // 000000007C18: BF108714
	global_atomic_pk_add_f16 v94, v79, s[8:9] offset:256       // 000000007C1C: DD388100 00084F5E
	s_setvskip 0, 0                                            // 000000007C24: BF108080
	s_branch label_1461                                        // 000000007C28: BF8200D6

0000000000007c2c <label_138B>:
	ds_read_b32 v64, v4 offset:18688                           // 000000007C2C: D86C4900 40000004
	ds_read_b32 v65, v4 offset:23040                           // 000000007C34: D86C5A00 41000004
	ds_read_b32 v66, v4 offset:18720                           // 000000007C3C: D86C4920 42000004
	ds_read_b32 v67, v4 offset:23072                           // 000000007C44: D86C5A20 43000004
	ds_read_b32 v68, v4 offset:18752                           // 000000007C4C: D86C4940 44000004
	ds_read_b32 v69, v4 offset:23104                           // 000000007C54: D86C5A40 45000004
	ds_read_b32 v70, v4 offset:18784                           // 000000007C5C: D86C4960 46000004
	ds_read_b32 v71, v4 offset:23136                           // 000000007C64: D86C5A60 47000004
	ds_read_b32 v72, v4 offset:27392                           // 000000007C6C: D86C6B00 48000004
	ds_read_b32 v73, v4 offset:31744                           // 000000007C74: D86C7C00 49000004
	ds_read_b32 v74, v4 offset:27424                           // 000000007C7C: D86C6B20 4A000004
	ds_read_b32 v75, v4 offset:31776                           // 000000007C84: D86C7C20 4B000004
	ds_read_b32 v76, v4 offset:27456                           // 000000007C8C: D86C6B40 4C000004
	ds_read_b32 v77, v4 offset:31808                           // 000000007C94: D86C7C40 4D000004
	ds_read_b32 v78, v4 offset:27488                           // 000000007C9C: D86C6B60 4E000004
	ds_read_b32 v79, v4 offset:31840                           // 000000007CA4: D86C7C60 4F000004
	s_waitcnt lgkmcnt(0)                                       // 000000007CAC: BF8CC07F
	s_setvskip s20, 0                                          // 000000007CB0: BF108014
	global_atomic_pk_add_f16 v80, v64, s[8:9]                  // 000000007CB4: DD388000 00084050
	s_setvskip 0, 0                                            // 000000007CBC: BF108080
	s_setvskip s20, 0                                          // 000000007CC0: BF108014
	global_atomic_pk_add_f16 v80, v65, s[8:9] offset:256       // 000000007CC4: DD388100 00084150
	s_setvskip 0, 0                                            // 000000007CCC: BF108080
	s_setvskip s20, 1                                          // 000000007CD0: BF108114
	global_atomic_pk_add_f16 v82, v66, s[8:9]                  // 000000007CD4: DD388000 00084252
	s_setvskip 0, 0                                            // 000000007CDC: BF108080
	s_setvskip s20, 1                                          // 000000007CE0: BF108114
	global_atomic_pk_add_f16 v82, v67, s[8:9] offset:256       // 000000007CE4: DD388100 00084352
	s_setvskip 0, 0                                            // 000000007CEC: BF108080
	s_setvskip s20, 2                                          // 000000007CF0: BF108214
	global_atomic_pk_add_f16 v84, v68, s[8:9]                  // 000000007CF4: DD388000 00084454
	s_setvskip 0, 0                                            // 000000007CFC: BF108080
	s_setvskip s20, 2                                          // 000000007D00: BF108214
	global_atomic_pk_add_f16 v84, v69, s[8:9] offset:256       // 000000007D04: DD388100 00084554
	s_setvskip 0, 0                                            // 000000007D0C: BF108080
	s_setvskip s20, 3                                          // 000000007D10: BF108314
	global_atomic_pk_add_f16 v86, v70, s[8:9]                  // 000000007D14: DD388000 00084656
	s_setvskip 0, 0                                            // 000000007D1C: BF108080
	s_setvskip s20, 3                                          // 000000007D20: BF108314
	global_atomic_pk_add_f16 v86, v71, s[8:9] offset:256       // 000000007D24: DD388100 00084756
	s_setvskip 0, 0                                            // 000000007D2C: BF108080
	s_setvskip s20, 4                                          // 000000007D30: BF108414
	global_atomic_pk_add_f16 v88, v72, s[8:9]                  // 000000007D34: DD388000 00084858
	s_setvskip 0, 0                                            // 000000007D3C: BF108080
	s_setvskip s20, 4                                          // 000000007D40: BF108414
	global_atomic_pk_add_f16 v88, v73, s[8:9] offset:256       // 000000007D44: DD388100 00084958
	s_setvskip 0, 0                                            // 000000007D4C: BF108080
	s_setvskip s20, 5                                          // 000000007D50: BF108514
	global_atomic_pk_add_f16 v90, v74, s[8:9]                  // 000000007D54: DD388000 00084A5A
	s_setvskip 0, 0                                            // 000000007D5C: BF108080
	s_setvskip s20, 5                                          // 000000007D60: BF108514
	global_atomic_pk_add_f16 v90, v75, s[8:9] offset:256       // 000000007D64: DD388100 00084B5A
	s_setvskip 0, 0                                            // 000000007D6C: BF108080
	s_setvskip s20, 6                                          // 000000007D70: BF108614
	global_atomic_pk_add_f16 v92, v76, s[8:9]                  // 000000007D74: DD388000 00084C5C
	s_setvskip 0, 0                                            // 000000007D7C: BF108080
	s_setvskip s20, 6                                          // 000000007D80: BF108614
	global_atomic_pk_add_f16 v92, v77, s[8:9] offset:256       // 000000007D84: DD388100 00084D5C
	s_setvskip 0, 0                                            // 000000007D8C: BF108080
	s_setvskip s20, 7                                          // 000000007D90: BF108714
	global_atomic_pk_add_f16 v94, v78, s[8:9]                  // 000000007D94: DD388000 00084E5E
	s_setvskip 0, 0                                            // 000000007D9C: BF108080
	s_setvskip s20, 7                                          // 000000007DA0: BF108714
	global_atomic_pk_add_f16 v94, v79, s[8:9] offset:256       // 000000007DA4: DD388100 00084F5E
	s_setvskip 0, 0                                            // 000000007DAC: BF108080
	s_add_u32 s8, s59, s8                                      // 000000007DB0: 8008083B
	s_addc_u32 s9, 0, s9                                       // 000000007DB4: 82090980
	ds_write_b64 v3, v[184:185] offset:36096                   // 000000007DB8: D89A8D00 0000B803
	ds_write_b64 v3, v[186:187] offset:44800                   // 000000007DC0: D89AAF00 0000BA03
	ds_write_b64 v3, v[188:189] offset:38272                   // 000000007DC8: D89A9580 0000BC03
	ds_write_b64 v3, v[190:191] offset:46976                   // 000000007DD0: D89AB780 0000BE03
	ds_write_b64 v3, v[192:193] offset:40448                   // 000000007DD8: D89A9E00 0000C003
	ds_write_b64 v3, v[194:195] offset:49152                   // 000000007DE0: D89AC000 0000C203
	ds_write_b64 v3, v[196:197] offset:42624                   // 000000007DE8: D89AA680 0000C403
	ds_write_b64 v3, v[198:199] offset:51328                   // 000000007DF0: D89AC880 0000C603
	s_waitcnt lgkmcnt(0)                                       // 000000007DF8: BF8CC07F
	s_barrier                                                  // 000000007DFC: BF8A0000
	ds_read_b32 v64, v4 offset:36096                           // 000000007E00: D86C8D00 40000004
	ds_read_b32 v65, v4 offset:40448                           // 000000007E08: D86C9E00 41000004
	ds_read_b32 v66, v4 offset:36128                           // 000000007E10: D86C8D20 42000004
	ds_read_b32 v67, v4 offset:40480                           // 000000007E18: D86C9E20 43000004
	ds_read_b32 v68, v4 offset:36160                           // 000000007E20: D86C8D40 44000004
	ds_read_b32 v69, v4 offset:40512                           // 000000007E28: D86C9E40 45000004
	ds_read_b32 v70, v4 offset:36192                           // 000000007E30: D86C8D60 46000004
	ds_read_b32 v71, v4 offset:40544                           // 000000007E38: D86C9E60 47000004
	ds_read_b32 v72, v4 offset:44800                           // 000000007E40: D86CAF00 48000004
	ds_read_b32 v73, v4 offset:49152                           // 000000007E48: D86CC000 49000004
	ds_read_b32 v74, v4 offset:44832                           // 000000007E50: D86CAF20 4A000004
	ds_read_b32 v75, v4 offset:49184                           // 000000007E58: D86CC020 4B000004
	ds_read_b32 v76, v4 offset:44864                           // 000000007E60: D86CAF40 4C000004
	ds_read_b32 v77, v4 offset:49216                           // 000000007E68: D86CC040 4D000004
	ds_read_b32 v78, v4 offset:44896                           // 000000007E70: D86CAF60 4E000004
	ds_read_b32 v79, v4 offset:49248                           // 000000007E78: D86CC060 4F000004
	s_waitcnt lgkmcnt(0)                                       // 000000007E80: BF8CC07F
	s_setvskip s20, 0                                          // 000000007E84: BF108014
	global_atomic_pk_add_f16 v80, v64, s[8:9]                  // 000000007E88: DD388000 00084050
	s_setvskip 0, 0                                            // 000000007E90: BF108080
	s_setvskip s20, 0                                          // 000000007E94: BF108014
	global_atomic_pk_add_f16 v80, v65, s[8:9] offset:256       // 000000007E98: DD388100 00084150
	s_setvskip 0, 0                                            // 000000007EA0: BF108080
	s_setvskip s20, 1                                          // 000000007EA4: BF108114
	global_atomic_pk_add_f16 v82, v66, s[8:9]                  // 000000007EA8: DD388000 00084252
	s_setvskip 0, 0                                            // 000000007EB0: BF108080
	s_setvskip s20, 1                                          // 000000007EB4: BF108114
	global_atomic_pk_add_f16 v82, v67, s[8:9] offset:256       // 000000007EB8: DD388100 00084352
	s_setvskip 0, 0                                            // 000000007EC0: BF108080
	s_setvskip s20, 2                                          // 000000007EC4: BF108214
	global_atomic_pk_add_f16 v84, v68, s[8:9]                  // 000000007EC8: DD388000 00084454
	s_setvskip 0, 0                                            // 000000007ED0: BF108080
	s_setvskip s20, 2                                          // 000000007ED4: BF108214
	global_atomic_pk_add_f16 v84, v69, s[8:9] offset:256       // 000000007ED8: DD388100 00084554
	s_setvskip 0, 0                                            // 000000007EE0: BF108080
	s_setvskip s20, 3                                          // 000000007EE4: BF108314
	global_atomic_pk_add_f16 v86, v70, s[8:9]                  // 000000007EE8: DD388000 00084656
	s_setvskip 0, 0                                            // 000000007EF0: BF108080
	s_setvskip s20, 3                                          // 000000007EF4: BF108314
	global_atomic_pk_add_f16 v86, v71, s[8:9] offset:256       // 000000007EF8: DD388100 00084756
	s_setvskip 0, 0                                            // 000000007F00: BF108080
	s_setvskip s20, 4                                          // 000000007F04: BF108414
	global_atomic_pk_add_f16 v88, v72, s[8:9]                  // 000000007F08: DD388000 00084858
	s_setvskip 0, 0                                            // 000000007F10: BF108080
	s_setvskip s20, 4                                          // 000000007F14: BF108414
	global_atomic_pk_add_f16 v88, v73, s[8:9] offset:256       // 000000007F18: DD388100 00084958
	s_setvskip 0, 0                                            // 000000007F20: BF108080
	s_setvskip s20, 5                                          // 000000007F24: BF108514
	global_atomic_pk_add_f16 v90, v74, s[8:9]                  // 000000007F28: DD388000 00084A5A
	s_setvskip 0, 0                                            // 000000007F30: BF108080
	s_setvskip s20, 5                                          // 000000007F34: BF108514
	global_atomic_pk_add_f16 v90, v75, s[8:9] offset:256       // 000000007F38: DD388100 00084B5A
	s_setvskip 0, 0                                            // 000000007F40: BF108080
	s_setvskip s20, 6                                          // 000000007F44: BF108614
	global_atomic_pk_add_f16 v92, v76, s[8:9]                  // 000000007F48: DD388000 00084C5C
	s_setvskip 0, 0                                            // 000000007F50: BF108080
	s_setvskip s20, 6                                          // 000000007F54: BF108614
	global_atomic_pk_add_f16 v92, v77, s[8:9] offset:256       // 000000007F58: DD388100 00084D5C
	s_setvskip 0, 0                                            // 000000007F60: BF108080
	s_setvskip s20, 7                                          // 000000007F64: BF108714
	global_atomic_pk_add_f16 v94, v78, s[8:9]                  // 000000007F68: DD388000 00084E5E
	s_setvskip 0, 0                                            // 000000007F70: BF108080
	s_setvskip s20, 7                                          // 000000007F74: BF108714
	global_atomic_pk_add_f16 v94, v79, s[8:9] offset:256       // 000000007F78: DD388100 00084F5E
	s_setvskip 0, 0                                            // 000000007F80: BF108080

0000000000007f84 <label_1461>:
	s_waitcnt vmcnt(0) expcnt(0) lgkmcnt(0)                    // 000000007F84: BF8C0000
	s_endpgm                                                   // 000000007F88: BF810000
